;; amdgpu-corpus repo=ROCm/rocFFT kind=compiled arch=gfx1201 opt=O3
	.text
	.amdgcn_target "amdgcn-amd-amdhsa--gfx1201"
	.amdhsa_code_object_version 6
	.protected	fft_rtc_back_len192_factors_4_4_2_2_3_wgs_252_tpt_12_dim3_sp_ip_CI_sbcc_twdbase8_2step_dirReg ; -- Begin function fft_rtc_back_len192_factors_4_4_2_2_3_wgs_252_tpt_12_dim3_sp_ip_CI_sbcc_twdbase8_2step_dirReg
	.globl	fft_rtc_back_len192_factors_4_4_2_2_3_wgs_252_tpt_12_dim3_sp_ip_CI_sbcc_twdbase8_2step_dirReg
	.p2align	8
	.type	fft_rtc_back_len192_factors_4_4_2_2_3_wgs_252_tpt_12_dim3_sp_ip_CI_sbcc_twdbase8_2step_dirReg,@function
fft_rtc_back_len192_factors_4_4_2_2_3_wgs_252_tpt_12_dim3_sp_ip_CI_sbcc_twdbase8_2step_dirReg: ; @fft_rtc_back_len192_factors_4_4_2_2_3_wgs_252_tpt_12_dim3_sp_ip_CI_sbcc_twdbase8_2step_dirReg
; %bb.0:
	s_load_b128 s[8:11], s[0:1], 0x10
	s_mov_b32 s3, 0
	s_mov_b32 s4, 0x30c26c00
	;; [unrolled: 1-line block ×4, first 2 shown]
	s_movk_i32 s6, 0xffeb
	s_add_nc_u64 s[4:5], s[2:3], s[4:5]
	s_mov_b32 s7, -1
	s_add_co_i32 s5, s5, 0xc30c2e0
	s_delay_alu instid0(SALU_CYCLE_1) | instskip(NEXT) | instid1(SALU_CYCLE_1)
	s_mul_u64 s[6:7], s[4:5], s[6:7]
	s_mul_hi_u32 s15, s4, s7
	s_mul_i32 s14, s4, s7
	s_mul_hi_u32 s2, s4, s6
	s_mul_i32 s17, s5, s6
	s_add_nc_u64 s[14:15], s[2:3], s[14:15]
	s_mul_hi_u32 s16, s5, s6
	s_mul_hi_u32 s18, s5, s7
	s_add_co_u32 s2, s14, s17
	s_wait_kmcnt 0x0
	s_load_b64 s[12:13], s[8:9], 0x8
	s_add_co_ci_u32 s2, s15, s16
	s_mul_i32 s6, s5, s7
	s_add_co_ci_u32 s7, s18, 0
	s_delay_alu instid0(SALU_CYCLE_1) | instskip(NEXT) | instid1(SALU_CYCLE_1)
	s_add_nc_u64 s[6:7], s[2:3], s[6:7]
	v_add_co_u32 v1, s2, s4, s6
	s_delay_alu instid0(VALU_DEP_1) | instskip(SKIP_1) | instid1(VALU_DEP_1)
	s_cmp_lg_u32 s2, 0
	s_add_co_ci_u32 s14, s5, s7
	v_readfirstlane_b32 s15, v1
	s_wait_kmcnt 0x0
	s_add_nc_u64 s[4:5], s[12:13], -1
	s_wait_alu 0xfffe
	s_mul_hi_u32 s7, s4, s14
	s_mul_i32 s6, s4, s14
	s_mul_hi_u32 s2, s4, s15
	s_mul_hi_u32 s17, s5, s15
	s_mul_i32 s15, s5, s15
	s_wait_alu 0xfffe
	s_add_nc_u64 s[6:7], s[2:3], s[6:7]
	s_mul_hi_u32 s16, s5, s14
	s_wait_alu 0xfffe
	s_add_co_u32 s2, s6, s15
	s_add_co_ci_u32 s2, s7, s17
	s_mul_i32 s14, s5, s14
	s_add_co_ci_u32 s15, s16, 0
	s_delay_alu instid0(SALU_CYCLE_1) | instskip(SKIP_2) | instid1(SALU_CYCLE_1)
	s_add_nc_u64 s[6:7], s[2:3], s[14:15]
	s_wait_alu 0xfffe
	s_mul_u64 s[14:15], s[6:7], 21
	v_sub_co_u32 v1, s2, s4, s14
	s_delay_alu instid0(VALU_DEP_1) | instskip(SKIP_1) | instid1(VALU_DEP_1)
	s_cmp_lg_u32 s2, 0
	s_sub_co_ci_u32 s16, s5, s15
	v_sub_co_u32 v2, s4, v1, 21
	s_delay_alu instid0(VALU_DEP_1) | instskip(SKIP_2) | instid1(VALU_DEP_2)
	s_cmp_lg_u32 s4, 0
	v_readfirstlane_b32 s17, v1
	s_sub_co_ci_u32 s14, s16, 0
	v_readfirstlane_b32 s2, v2
	s_add_nc_u64 s[4:5], s[6:7], 1
	s_delay_alu instid0(VALU_DEP_1)
	s_cmp_gt_u32 s2, 20
	s_cselect_b32 s2, -1, 0
	s_wait_alu 0xfffe
	s_cmp_eq_u32 s14, 0
	s_add_nc_u64 s[14:15], s[6:7], 2
	s_cselect_b32 s2, s2, -1
	s_delay_alu instid0(SALU_CYCLE_1)
	s_cmp_lg_u32 s2, 0
	s_wait_alu 0xfffe
	s_cselect_b32 s2, s14, s4
	s_cselect_b32 s4, s15, s5
	s_cmp_gt_u32 s17, 20
	s_cselect_b32 s5, -1, 0
	s_cmp_eq_u32 s16, 0
	s_mov_b64 s[16:17], 0
	s_wait_alu 0xfffe
	s_cselect_b32 s5, s5, -1
	s_wait_alu 0xfffe
	s_cmp_lg_u32 s5, 0
	s_cselect_b32 s5, s4, s7
	s_cselect_b32 s4, s2, s6
	s_mov_b32 s2, ttmp9
	s_wait_alu 0xfffe
	s_add_nc_u64 s[14:15], s[4:5], 1
	s_wait_alu 0xfffe
	v_cmp_lt_u64_e64 s4, s[2:3], s[14:15]
	s_delay_alu instid0(VALU_DEP_1)
	s_and_b32 vcc_lo, exec_lo, s4
	s_cbranch_vccnz .LBB0_2
; %bb.1:
	v_cvt_f32_u32_e32 v1, s14
	s_sub_co_i32 s5, 0, s14
	s_mov_b32 s17, s3
	s_delay_alu instid0(VALU_DEP_1) | instskip(NEXT) | instid1(TRANS32_DEP_1)
	v_rcp_iflag_f32_e32 v1, v1
	v_mul_f32_e32 v1, 0x4f7ffffe, v1
	s_delay_alu instid0(VALU_DEP_1) | instskip(NEXT) | instid1(VALU_DEP_1)
	v_cvt_u32_f32_e32 v1, v1
	v_readfirstlane_b32 s4, v1
	s_wait_alu 0xfffe
	s_delay_alu instid0(VALU_DEP_1)
	s_mul_i32 s5, s5, s4
	s_wait_alu 0xfffe
	s_mul_hi_u32 s5, s4, s5
	s_wait_alu 0xfffe
	s_add_co_i32 s4, s4, s5
	s_wait_alu 0xfffe
	s_mul_hi_u32 s4, s2, s4
	s_wait_alu 0xfffe
	s_mul_i32 s5, s4, s14
	s_add_co_i32 s6, s4, 1
	s_wait_alu 0xfffe
	s_sub_co_i32 s5, s2, s5
	s_wait_alu 0xfffe
	s_sub_co_i32 s7, s5, s14
	s_cmp_ge_u32 s5, s14
	s_cselect_b32 s4, s6, s4
	s_wait_alu 0xfffe
	s_cselect_b32 s5, s7, s5
	s_add_co_i32 s6, s4, 1
	s_wait_alu 0xfffe
	s_cmp_ge_u32 s5, s14
	s_cselect_b32 s16, s6, s4
.LBB0_2:
	s_load_b64 s[8:9], s[8:9], 0x10
	s_mov_b64 s[18:19], s[16:17]
	s_wait_kmcnt 0x0
	v_cmp_lt_u64_e64 s4, s[16:17], s[8:9]
	s_delay_alu instid0(VALU_DEP_1)
	s_and_b32 vcc_lo, exec_lo, s4
	s_cbranch_vccnz .LBB0_4
; %bb.3:
	v_cvt_f32_u32_e32 v1, s8
	s_sub_co_i32 s5, 0, s8
	s_mov_b32 s19, 0
	s_delay_alu instid0(VALU_DEP_1) | instskip(NEXT) | instid1(TRANS32_DEP_1)
	v_rcp_iflag_f32_e32 v1, v1
	v_mul_f32_e32 v1, 0x4f7ffffe, v1
	s_delay_alu instid0(VALU_DEP_1) | instskip(NEXT) | instid1(VALU_DEP_1)
	v_cvt_u32_f32_e32 v1, v1
	v_readfirstlane_b32 s4, v1
	s_wait_alu 0xfffe
	s_delay_alu instid0(VALU_DEP_1)
	s_mul_i32 s5, s5, s4
	s_wait_alu 0xfffe
	s_mul_hi_u32 s5, s4, s5
	s_wait_alu 0xfffe
	s_add_co_i32 s4, s4, s5
	s_wait_alu 0xfffe
	s_mul_hi_u32 s4, s16, s4
	s_wait_alu 0xfffe
	s_mul_i32 s4, s4, s8
	s_wait_alu 0xfffe
	s_sub_co_i32 s4, s16, s4
	s_wait_alu 0xfffe
	s_sub_co_i32 s5, s4, s8
	s_cmp_ge_u32 s4, s8
	s_wait_alu 0xfffe
	s_cselect_b32 s4, s5, s4
	s_wait_alu 0xfffe
	s_sub_co_i32 s5, s4, s8
	s_cmp_ge_u32 s4, s8
	s_wait_alu 0xfffe
	s_cselect_b32 s18, s5, s4
.LBB0_4:
	s_clause 0x1
	s_load_b128 s[4:7], s[10:11], 0x0
	s_load_b64 s[20:21], s[10:11], 0x10
	s_mul_u64 s[8:9], s[8:9], s[14:15]
	s_mov_b64 s[22:23], 0
	s_wait_alu 0xfffe
	v_cmp_lt_u64_e64 s9, s[2:3], s[8:9]
	s_delay_alu instid0(VALU_DEP_1)
	s_and_b32 vcc_lo, exec_lo, s9
	s_cbranch_vccnz .LBB0_6
; %bb.5:
	v_cvt_f32_u32_e32 v1, s8
	s_sub_co_i32 s22, 0, s8
	s_delay_alu instid0(VALU_DEP_1) | instskip(NEXT) | instid1(TRANS32_DEP_1)
	v_rcp_iflag_f32_e32 v1, v1
	v_mul_f32_e32 v1, 0x4f7ffffe, v1
	s_delay_alu instid0(VALU_DEP_1) | instskip(NEXT) | instid1(VALU_DEP_1)
	v_cvt_u32_f32_e32 v1, v1
	v_readfirstlane_b32 s9, v1
	s_delay_alu instid0(VALU_DEP_1) | instskip(NEXT) | instid1(SALU_CYCLE_1)
	s_mul_i32 s22, s22, s9
	s_mul_hi_u32 s22, s9, s22
	s_delay_alu instid0(SALU_CYCLE_1)
	s_add_co_i32 s9, s9, s22
	s_wait_alu 0xfffe
	s_mul_hi_u32 s9, s2, s9
	s_wait_alu 0xfffe
	s_mul_i32 s22, s9, s8
	s_add_co_i32 s23, s9, 1
	s_sub_co_i32 s22, s2, s22
	s_delay_alu instid0(SALU_CYCLE_1)
	s_sub_co_i32 s24, s22, s8
	s_cmp_ge_u32 s22, s8
	s_cselect_b32 s9, s23, s9
	s_cselect_b32 s22, s24, s22
	s_wait_alu 0xfffe
	s_add_co_i32 s24, s9, 1
	s_cmp_ge_u32 s22, s8
	s_mov_b32 s23, 0
	s_cselect_b32 s22, s24, s9
.LBB0_6:
	v_mul_u32_u24_e32 v1, 0xc31, v0
	s_load_b64 s[10:11], s[10:11], 0x18
	s_mul_u64 s[8:9], s[16:17], s[14:15]
	s_wait_alu 0xfffe
	s_sub_nc_u64 s[2:3], s[2:3], s[8:9]
	v_lshrrev_b32_e32 v70, 16, v1
	s_clause 0x1
	s_load_b64 s[14:15], s[0:1], 0x0
	s_load_b64 s[8:9], s[0:1], 0x50
	s_mul_u64 s[16:17], s[2:3], 21
	s_wait_kmcnt 0x0
	s_mul_u64 s[2:3], s[20:21], s[18:19]
	s_wait_alu 0xfffe
	s_mul_u64 s[18:19], s[6:7], s[16:17]
	v_mul_lo_u16 v1, v70, 21
	s_add_nc_u64 s[20:21], s[16:17], 21
	s_add_nc_u64 s[18:19], s[2:3], s[18:19]
	v_cmp_gt_u64_e64 s2, s[20:21], s[12:13]
	v_cmp_le_u64_e64 s3, s[20:21], s[12:13]
	v_sub_nc_u16 v1, v0, v1
	v_or_b32_e32 v35, 48, v70
	v_add_nc_u32_e32 v36, 12, v70
	v_add_nc_u32_e32 v37, 60, v70
	s_and_b32 vcc_lo, exec_lo, s2
	v_and_b32_e32 v71, 0xffff, v1
	v_add_nc_u32_e32 v39, 24, v70
	v_add_nc_u32_e32 v38, 0x48, v70
	;; [unrolled: 1-line block ×4, first 2 shown]
	v_add_co_u32 v48, s2, s16, v71
	s_wait_alu 0xf1ff
	v_add_co_ci_u32_e64 v49, null, s17, 0, s2
	s_mul_u64 s[10:11], s[10:11], s[22:23]
	s_mov_b32 s2, 0
	s_add_nc_u64 s[10:11], s[10:11], s[18:19]
	s_cbranch_vccnz .LBB0_8
; %bb.7:
	v_mad_co_u64_u32 v[1:2], null, s6, v71, 0
	v_mad_co_u64_u32 v[3:4], null, s4, v70, 0
	v_or_b32_e32 v73, 48, v70
	v_or_b32_e32 v11, 0x60, v70
	s_lshl_b64 s[16:17], s[10:11], 3
	v_add_nc_u32_e32 v74, 12, v70
	s_wait_alu 0xfffe
	s_add_nc_u64 s[16:17], s[8:9], s[16:17]
	v_mad_co_u64_u32 v[5:6], null, s4, v73, 0
	v_mad_co_u64_u32 v[7:8], null, s7, v71, v[2:3]
	v_add_nc_u32_e32 v72, 60, v70
	v_or_b32_e32 v13, 0x90, v70
	v_add_nc_u32_e32 v28, 0x78, v70
	v_add_nc_u32_e32 v23, 0x9c, v70
	v_mad_co_u64_u32 v[8:9], null, s5, v70, v[4:5]
	v_mov_b32_e32 v2, v7
	v_mad_co_u64_u32 v[9:10], null, s4, v11, 0
	v_mad_co_u64_u32 v[16:17], null, s4, v72, 0
	s_delay_alu instid0(VALU_DEP_3)
	v_lshlrev_b64_e32 v[1:2], 3, v[1:2]
	v_mad_co_u64_u32 v[24:25], null, s4, v28, 0
	v_add_nc_u32_e32 v75, 24, v70
	v_add_nc_u32_e32 v33, 0x48, v70
	v_add_nc_u32_e32 v29, 0xa8, v70
	s_wait_alu 0xfffe
	v_add_co_u32 v47, vcc_lo, s16, v1
	v_add_co_ci_u32_e32 v53, vcc_lo, s17, v2, vcc_lo
	v_mad_co_u64_u32 v[1:2], null, s5, v11, v[10:11]
	v_mad_co_u64_u32 v[11:12], null, s4, v74, 0
	v_mov_b32_e32 v4, v6
	s_delay_alu instid0(VALU_DEP_2) | instskip(NEXT) | instid1(VALU_DEP_2)
	v_dual_mov_b32 v10, v1 :: v_dual_mov_b32 v1, v12
	v_mad_co_u64_u32 v[6:7], null, s5, v73, v[4:5]
	v_mov_b32_e32 v4, v8
	v_mad_co_u64_u32 v[7:8], null, s4, v13, 0
	s_delay_alu instid0(VALU_DEP_2) | instskip(NEXT) | instid1(VALU_DEP_4)
	v_lshlrev_b64_e32 v[3:4], 3, v[3:4]
	v_lshlrev_b64_e32 v[5:6], 3, v[5:6]
	s_delay_alu instid0(VALU_DEP_3) | instskip(NEXT) | instid1(VALU_DEP_3)
	v_mov_b32_e32 v2, v8
	v_add_co_u32 v3, vcc_lo, v47, v3
	s_wait_alu 0xfffd
	s_delay_alu instid0(VALU_DEP_4) | instskip(NEXT) | instid1(VALU_DEP_2)
	v_add_co_ci_u32_e32 v4, vcc_lo, v53, v4, vcc_lo
	v_mad_co_u64_u32 v[13:14], null, s5, v13, v[2:3]
	v_add_co_u32 v14, vcc_lo, v47, v5
	s_wait_alu 0xfffd
	v_add_co_ci_u32_e32 v15, vcc_lo, v53, v6, vcc_lo
	v_lshlrev_b64_e32 v[5:6], 3, v[9:10]
	v_mad_co_u64_u32 v[1:2], null, s5, v74, v[1:2]
	v_dual_mov_b32 v8, v13 :: v_dual_add_nc_u32 v13, 0x6c, v70
	s_delay_alu instid0(VALU_DEP_3) | instskip(SKIP_1) | instid1(VALU_DEP_4)
	v_add_co_u32 v9, vcc_lo, v47, v5
	s_wait_alu 0xfffd
	v_add_co_ci_u32_e32 v10, vcc_lo, v53, v6, vcc_lo
	s_delay_alu instid0(VALU_DEP_3) | instskip(SKIP_2) | instid1(VALU_DEP_3)
	v_lshlrev_b64_e32 v[5:6], 3, v[7:8]
	v_mad_co_u64_u32 v[18:19], null, s4, v13, 0
	v_mov_b32_e32 v12, v1
	v_add_co_u32 v1, vcc_lo, v47, v5
	s_wait_alu 0xfffd
	s_delay_alu instid0(VALU_DEP_4) | instskip(NEXT) | instid1(VALU_DEP_4)
	v_add_co_ci_u32_e32 v2, vcc_lo, v53, v6, vcc_lo
	v_dual_mov_b32 v5, v17 :: v_dual_mov_b32 v6, v19
	v_lshlrev_b64_e32 v[11:12], 3, v[11:12]
	s_delay_alu instid0(VALU_DEP_2)
	v_mad_co_u64_u32 v[19:20], null, s5, v72, v[5:6]
	v_mad_co_u64_u32 v[20:21], null, s5, v13, v[6:7]
	;; [unrolled: 1-line block ×3, first 2 shown]
	s_clause 0x3
	global_load_b64 v[5:6], v[3:4], off
	global_load_b64 v[3:4], v[14:15], off
	;; [unrolled: 1-line block ×4, first 2 shown]
	v_add_co_u32 v9, vcc_lo, v47, v11
	v_mov_b32_e32 v17, v19
	s_wait_alu 0xfffd
	v_add_co_ci_u32_e32 v10, vcc_lo, v53, v12, vcc_lo
	v_mov_b32_e32 v11, v22
	v_mov_b32_e32 v19, v20
	v_lshlrev_b64_e32 v[12:13], 3, v[16:17]
	s_delay_alu instid0(VALU_DEP_1) | instskip(NEXT) | instid1(VALU_DEP_3)
	v_mad_co_u64_u32 v[14:15], null, s5, v23, v[11:12]
	v_lshlrev_b64_e32 v[15:16], 3, v[18:19]
	v_mad_co_u64_u32 v[17:18], null, s4, v75, 0
	v_add_co_u32 v11, vcc_lo, v47, v12
	s_wait_alu 0xfffd
	v_add_co_ci_u32_e32 v12, vcc_lo, v53, v13, vcc_lo
	v_mov_b32_e32 v22, v14
	v_add_co_u32 v15, vcc_lo, v47, v15
	v_mov_b32_e32 v13, v18
	s_wait_alu 0xfffd
	v_add_co_ci_u32_e32 v16, vcc_lo, v53, v16, vcc_lo
	v_lshlrev_b64_e32 v[18:19], 3, v[21:22]
	v_mad_co_u64_u32 v[20:21], null, s4, v33, 0
	v_mad_co_u64_u32 v[13:14], null, s5, v75, v[13:14]
	s_delay_alu instid0(VALU_DEP_3) | instskip(SKIP_1) | instid1(VALU_DEP_4)
	v_add_co_u32 v22, vcc_lo, v47, v18
	s_wait_alu 0xfffd
	v_add_co_ci_u32_e32 v23, vcc_lo, v53, v19, vcc_lo
	s_delay_alu instid0(VALU_DEP_4) | instskip(NEXT) | instid1(VALU_DEP_4)
	v_dual_mov_b32 v19, v25 :: v_dual_mov_b32 v14, v21
	v_mov_b32_e32 v18, v13
	s_delay_alu instid0(VALU_DEP_2)
	v_mad_co_u64_u32 v[26:27], null, s5, v33, v[14:15]
	s_clause 0x3
	global_load_b64 v[13:14], v[9:10], off
	global_load_b64 v[11:12], v[11:12], off
	;; [unrolled: 1-line block ×4, first 2 shown]
	v_mov_b32_e32 v21, v26
	v_mad_co_u64_u32 v[22:23], null, s5, v28, v[19:20]
	v_mad_co_u64_u32 v[26:27], null, s4, v29, 0
	v_add_nc_u32_e32 v76, 36, v70
	s_delay_alu instid0(VALU_DEP_4) | instskip(NEXT) | instid1(VALU_DEP_4)
	v_lshlrev_b64_e32 v[19:20], 3, v[20:21]
	v_mov_b32_e32 v25, v22
	v_lshlrev_b64_e32 v[17:18], 3, v[17:18]
	v_mov_b32_e32 v21, v27
	v_mad_co_u64_u32 v[22:23], null, s4, v76, 0
	v_add_nc_u32_e32 v34, 0x54, v70
	s_delay_alu instid0(VALU_DEP_4) | instskip(SKIP_2) | instid1(VALU_DEP_4)
	v_add_co_u32 v17, vcc_lo, v47, v17
	s_wait_alu 0xfffd
	v_add_co_ci_u32_e32 v18, vcc_lo, v53, v18, vcc_lo
	v_mad_co_u64_u32 v[27:28], null, s5, v29, v[21:22]
	v_mov_b32_e32 v21, v23
	v_mad_co_u64_u32 v[28:29], null, s4, v34, 0
	v_add_nc_u32_e32 v50, 0x84, v70
	v_lshlrev_b64_e32 v[23:24], 3, v[24:25]
	s_delay_alu instid0(VALU_DEP_4)
	v_mad_co_u64_u32 v[30:31], null, s5, v76, v[21:22]
	v_add_co_u32 v19, vcc_lo, v47, v19
	v_mov_b32_e32 v21, v29
	v_mad_co_u64_u32 v[31:32], null, s4, v50, 0
	s_wait_alu 0xfffd
	v_add_co_ci_u32_e32 v20, vcc_lo, v53, v20, vcc_lo
	s_delay_alu instid0(VALU_DEP_3) | instskip(SKIP_1) | instid1(VALU_DEP_4)
	v_mad_co_u64_u32 v[42:43], null, s5, v34, v[21:22]
	v_add_co_u32 v45, vcc_lo, v47, v23
	v_mov_b32_e32 v21, v32
	s_wait_alu 0xfffd
	v_add_co_ci_u32_e32 v46, vcc_lo, v53, v24, vcc_lo
	v_lshlrev_b64_e32 v[24:25], 3, v[26:27]
	v_mov_b32_e32 v23, v30
	v_mad_co_u64_u32 v[26:27], null, s5, v50, v[21:22]
	v_add_nc_u32_e32 v51, 0xb4, v70
	v_mov_b32_e32 v29, v42
	s_delay_alu instid0(VALU_DEP_4)
	v_lshlrev_b64_e32 v[22:23], 3, v[22:23]
	v_add_co_u32 v24, vcc_lo, v47, v24
	s_wait_alu 0xfffd
	v_add_co_ci_u32_e32 v25, vcc_lo, v53, v25, vcc_lo
	v_mov_b32_e32 v32, v26
	v_mad_co_u64_u32 v[43:44], null, s4, v51, 0
	v_lshlrev_b64_e32 v[27:28], 3, v[28:29]
	s_delay_alu instid0(VALU_DEP_3) | instskip(NEXT) | instid1(VALU_DEP_3)
	v_lshlrev_b64_e32 v[29:30], 3, v[31:32]
	v_mov_b32_e32 v21, v44
	s_delay_alu instid0(VALU_DEP_1) | instskip(SKIP_3) | instid1(VALU_DEP_3)
	v_mad_co_u64_u32 v[50:51], null, s5, v51, v[21:22]
	v_add_co_u32 v21, vcc_lo, v47, v22
	s_wait_alu 0xfffd
	v_add_co_ci_u32_e32 v22, vcc_lo, v53, v23, vcc_lo
	v_mov_b32_e32 v44, v50
	v_add_co_u32 v50, vcc_lo, v47, v27
	s_wait_alu 0xfffd
	v_add_co_ci_u32_e32 v51, vcc_lo, v53, v28, vcc_lo
	s_delay_alu instid0(VALU_DEP_3) | instskip(SKIP_3) | instid1(VALU_DEP_3)
	v_lshlrev_b64_e32 v[26:27], 3, v[43:44]
	v_add_co_u32 v42, vcc_lo, v47, v29
	s_wait_alu 0xfffd
	v_add_co_ci_u32_e32 v43, vcc_lo, v53, v30, vcc_lo
	v_add_co_u32 v52, vcc_lo, v47, v26
	s_wait_alu 0xfffd
	v_add_co_ci_u32_e32 v53, vcc_lo, v53, v27, vcc_lo
	s_clause 0x7
	global_load_b64 v[29:30], v[17:18], off
	global_load_b64 v[27:28], v[19:20], off
	;; [unrolled: 1-line block ×8, first 2 shown]
	s_and_not1_b32 vcc_lo, exec_lo, s2
	s_wait_alu 0xfffe
	s_cbranch_vccz .LBB0_9
	s_branch .LBB0_14
.LBB0_8:
                                        ; implicit-def: $vgpr1
                                        ; implicit-def: $vgpr9
                                        ; implicit-def: $vgpr25
                                        ; implicit-def: $vgpr23
                                        ; implicit-def: $vgpr21
                                        ; implicit-def: $vgpr17
                                        ; implicit-def: $vgpr19
                                        ; implicit-def: $vgpr31
                                        ; implicit-def: $vgpr27
                                        ; implicit-def: $vgpr29
                                        ; implicit-def: $vgpr15
                                        ; implicit-def: $vgpr11
                                        ; implicit-def: $vgpr13
                                        ; implicit-def: $vgpr7
                                        ; implicit-def: $vgpr3
                                        ; implicit-def: $vgpr5
                                        ; implicit-def: $vgpr74
                                        ; implicit-def: $vgpr75
                                        ; implicit-def: $vgpr76
                                        ; implicit-def: $vgpr73
                                        ; implicit-def: $vgpr72
                                        ; implicit-def: $vgpr33
                                        ; implicit-def: $vgpr34
.LBB0_9:
	s_mov_b32 s2, exec_lo
                                        ; implicit-def: $vgpr74
                                        ; implicit-def: $vgpr75
                                        ; implicit-def: $vgpr76
                                        ; implicit-def: $vgpr73
                                        ; implicit-def: $vgpr72
                                        ; implicit-def: $vgpr33
                                        ; implicit-def: $vgpr34
	v_cmpx_le_u64_e64 s[12:13], v[48:49]
	s_wait_alu 0xfffe
	s_xor_b32 s2, exec_lo, s2
; %bb.10:
	v_add_nc_u32_e32 v74, 12, v70
	v_add_nc_u32_e32 v75, 24, v70
	;; [unrolled: 1-line block ×3, first 2 shown]
	v_or_b32_e32 v73, 48, v70
	v_add_nc_u32_e32 v72, 60, v70
	v_add_nc_u32_e32 v33, 0x48, v70
	;; [unrolled: 1-line block ×3, first 2 shown]
                                        ; implicit-def: $vgpr35
                                        ; implicit-def: $vgpr36
                                        ; implicit-def: $vgpr37
                                        ; implicit-def: $vgpr39
                                        ; implicit-def: $vgpr38
                                        ; implicit-def: $vgpr41
                                        ; implicit-def: $vgpr40
; %bb.11:
	s_wait_alu 0xfffe
	s_or_saveexec_b32 s2, s2
                                        ; implicit-def: $vgpr1
                                        ; implicit-def: $vgpr9
                                        ; implicit-def: $vgpr25
                                        ; implicit-def: $vgpr23
                                        ; implicit-def: $vgpr21
                                        ; implicit-def: $vgpr17
                                        ; implicit-def: $vgpr19
                                        ; implicit-def: $vgpr31
                                        ; implicit-def: $vgpr27
                                        ; implicit-def: $vgpr29
                                        ; implicit-def: $vgpr15
                                        ; implicit-def: $vgpr11
                                        ; implicit-def: $vgpr13
                                        ; implicit-def: $vgpr7
                                        ; implicit-def: $vgpr3
                                        ; implicit-def: $vgpr5
	s_wait_alu 0xfffe
	s_xor_b32 exec_lo, exec_lo, s2
	s_cbranch_execz .LBB0_13
; %bb.12:
	s_wait_loadcnt 0xc
	v_mad_co_u64_u32 v[1:2], null, s6, v71, 0
	v_mad_co_u64_u32 v[3:4], null, s4, v70, 0
	;; [unrolled: 1-line block ×3, first 2 shown]
	s_wait_loadcnt 0xb
	v_or_b32_e32 v13, 0x60, v70
	s_wait_loadcnt 0x9
	v_or_b32_e32 v15, 0x90, v70
	s_lshl_b64 s[16:17], s[10:11], 3
	s_wait_loadcnt 0x1
	v_add_nc_u32_e32 v22, 0x9c, v70
	v_mad_co_u64_u32 v[7:8], null, s7, v71, v[2:3]
	v_mov_b32_e32 v2, v4
	v_mad_co_u64_u32 v[8:9], null, s4, v13, 0
	v_mov_b32_e32 v4, v6
	s_wait_alu 0xfffe
	s_add_nc_u64 s[16:17], s[8:9], s[16:17]
	v_mad_co_u64_u32 v[10:11], null, s5, v70, v[2:3]
	v_mov_b32_e32 v2, v7
	v_mad_co_u64_u32 v[6:7], null, s5, v35, v[4:5]
	v_dual_mov_b32 v4, v9 :: v_dual_add_nc_u32 v21, 0x6c, v70
	s_delay_alu instid0(VALU_DEP_3) | instskip(SKIP_1) | instid1(VALU_DEP_3)
	v_lshlrev_b64_e32 v[1:2], 3, v[1:2]
	v_mad_co_u64_u32 v[11:12], null, s4, v15, 0
	v_mad_co_u64_u32 v[13:14], null, s5, v13, v[4:5]
	v_mov_b32_e32 v4, v10
	s_wait_alu 0xfffe
	s_delay_alu instid0(VALU_DEP_4)
	v_add_co_u32 v47, vcc_lo, s16, v1
	s_wait_alu 0xfffd
	v_add_co_ci_u32_e32 v51, vcc_lo, s17, v2, vcc_lo
	v_lshlrev_b64_e32 v[2:3], 3, v[3:4]
	v_mov_b32_e32 v1, v12
	v_lshlrev_b64_e32 v[4:5], 3, v[5:6]
	v_mov_b32_e32 v9, v13
	v_mad_co_u64_u32 v[13:14], null, s4, v36, 0
	s_delay_alu instid0(VALU_DEP_4)
	v_mad_co_u64_u32 v[6:7], null, s5, v15, v[1:2]
	v_add_co_u32 v1, vcc_lo, v47, v2
	s_wait_alu 0xfffd
	v_add_co_ci_u32_e32 v2, vcc_lo, v51, v3, vcc_lo
	v_add_co_u32 v3, vcc_lo, v47, v4
	s_wait_alu 0xfffd
	v_add_co_ci_u32_e32 v4, vcc_lo, v51, v5, vcc_lo
	v_mov_b32_e32 v5, v14
	v_mad_co_u64_u32 v[15:16], null, s4, v21, 0
	v_mov_b32_e32 v12, v6
	v_lshlrev_b64_e32 v[7:8], 3, v[8:9]
	s_delay_alu instid0(VALU_DEP_4) | instskip(SKIP_1) | instid1(VALU_DEP_4)
	v_mad_co_u64_u32 v[5:6], null, s5, v36, v[5:6]
	v_mad_co_u64_u32 v[17:18], null, s4, v22, 0
	v_lshlrev_b64_e32 v[9:10], 3, v[11:12]
	v_mad_co_u64_u32 v[11:12], null, s4, v37, 0
	v_add_co_u32 v7, vcc_lo, v47, v7
	v_mov_b32_e32 v14, v5
	s_wait_alu 0xfffd
	v_add_co_ci_u32_e32 v8, vcc_lo, v51, v8, vcc_lo
	v_add_co_u32 v9, vcc_lo, v47, v9
	v_mov_b32_e32 v5, v12
	s_wait_alu 0xfffd
	v_add_co_ci_u32_e32 v10, vcc_lo, v51, v10, vcc_lo
	v_add_nc_u32_e32 v29, 0x78, v70
	v_add_nc_u32_e32 v42, 0x84, v70
	v_mad_co_u64_u32 v[19:20], null, s5, v37, v[5:6]
	s_clause 0x3
	global_load_b64 v[5:6], v[1:2], off
	global_load_b64 v[3:4], v[3:4], off
	;; [unrolled: 1-line block ×4, first 2 shown]
	v_dual_mov_b32 v9, v16 :: v_dual_mov_b32 v10, v18
	v_mad_co_u64_u32 v[30:31], null, s4, v42, 0
	v_dual_mov_b32 v12, v19 :: v_dual_add_nc_u32 v43, 0xb4, v70
	s_delay_alu instid0(VALU_DEP_3) | instskip(SKIP_2) | instid1(VALU_DEP_4)
	v_mad_co_u64_u32 v[18:19], null, s5, v21, v[9:10]
	v_mad_co_u64_u32 v[9:10], null, s5, v22, v[10:11]
	;; [unrolled: 1-line block ×3, first 2 shown]
	v_lshlrev_b64_e32 v[10:11], 3, v[11:12]
	v_mov_b32_e32 v74, v36
	v_mov_b32_e32 v16, v18
	;; [unrolled: 1-line block ×4, first 2 shown]
	v_dual_mov_b32 v72, v37 :: v_dual_mov_b32 v9, v20
	v_lshlrev_b64_e32 v[13:14], 3, v[13:14]
	v_mov_b32_e32 v75, v39
	v_mov_b32_e32 v73, v35
	s_delay_alu instid0(VALU_DEP_3) | instskip(SKIP_1) | instid1(VALU_DEP_4)
	v_add_co_u32 v12, vcc_lo, v47, v13
	s_wait_alu 0xfffd
	v_add_co_ci_u32_e32 v13, vcc_lo, v51, v14, vcc_lo
	v_add_co_u32 v10, vcc_lo, v47, v10
	v_lshlrev_b64_e32 v[14:15], 3, v[15:16]
	v_lshlrev_b64_e32 v[16:17], 3, v[17:18]
	s_wait_alu 0xfffd
	v_add_co_ci_u32_e32 v11, vcc_lo, v51, v11, vcc_lo
	v_mad_co_u64_u32 v[20:21], null, s5, v39, v[9:10]
	v_mad_co_u64_u32 v[21:22], null, s4, v38, 0
	s_wait_loadcnt 0x4
	v_add_co_u32 v23, vcc_lo, v47, v14
	s_wait_alu 0xfffd
	v_add_co_ci_u32_e32 v24, vcc_lo, v51, v15, vcc_lo
	v_add_co_u32 v25, vcc_lo, v47, v16
	s_wait_alu 0xfffd
	v_add_co_ci_u32_e32 v26, vcc_lo, v51, v17, vcc_lo
	v_mad_co_u64_u32 v[17:18], null, s4, v29, 0
	v_lshlrev_b64_e32 v[19:20], 3, v[19:20]
	v_mov_b32_e32 v9, v22
	s_delay_alu instid0(VALU_DEP_1)
	v_mad_co_u64_u32 v[27:28], null, s5, v38, v[9:10]
	s_clause 0x3
	global_load_b64 v[13:14], v[12:13], off
	global_load_b64 v[11:12], v[10:11], off
	;; [unrolled: 1-line block ×4, first 2 shown]
	v_mad_co_u64_u32 v[25:26], null, s5, v29, v[18:19]
	v_add_nc_u32_e32 v28, 0xa8, v70
	v_add_co_u32 v19, vcc_lo, v47, v19
	v_mov_b32_e32 v22, v27
	s_wait_alu 0xfffd
	v_add_co_ci_u32_e32 v20, vcc_lo, v51, v20, vcc_lo
	v_mad_co_u64_u32 v[23:24], null, s4, v28, 0
	v_mov_b32_e32 v18, v25
	v_mad_co_u64_u32 v[25:26], null, s4, v41, 0
	s_delay_alu instid0(VALU_DEP_2) | instskip(NEXT) | instid1(VALU_DEP_2)
	v_lshlrev_b64_e32 v[17:18], 3, v[17:18]
	v_mad_co_u64_u32 v[27:28], null, s5, v28, v[24:25]
	v_mad_co_u64_u32 v[28:29], null, s4, v40, 0
	s_delay_alu instid0(VALU_DEP_2) | instskip(SKIP_1) | instid1(VALU_DEP_3)
	v_mov_b32_e32 v24, v27
	v_mad_co_u64_u32 v[26:27], null, s5, v41, v[26:27]
	v_mov_b32_e32 v27, v29
	s_delay_alu instid0(VALU_DEP_3) | instskip(NEXT) | instid1(VALU_DEP_2)
	v_lshlrev_b64_e32 v[23:24], 3, v[23:24]
	v_mad_co_u64_u32 v[32:33], null, s5, v40, v[27:28]
	v_mad_co_u64_u32 v[33:34], null, s4, v43, 0
	v_mov_b32_e32 v27, v31
	v_lshlrev_b64_e32 v[25:26], 3, v[25:26]
	s_delay_alu instid0(VALU_DEP_4) | instskip(NEXT) | instid1(VALU_DEP_3)
	v_mov_b32_e32 v29, v32
	v_mad_co_u64_u32 v[31:32], null, s5, v42, v[27:28]
	v_mov_b32_e32 v27, v34
	v_lshlrev_b64_e32 v[21:22], 3, v[21:22]
	s_delay_alu instid0(VALU_DEP_2) | instskip(NEXT) | instid1(VALU_DEP_2)
	v_mad_co_u64_u32 v[42:43], null, s5, v43, v[27:28]
	v_add_co_u32 v21, vcc_lo, v47, v21
	s_wait_alu 0xfffd
	s_delay_alu instid0(VALU_DEP_3)
	v_add_co_ci_u32_e32 v22, vcc_lo, v51, v22, vcc_lo
	v_add_co_u32 v17, vcc_lo, v47, v17
	s_wait_alu 0xfffd
	v_add_co_ci_u32_e32 v18, vcc_lo, v51, v18, vcc_lo
	v_add_co_u32 v23, vcc_lo, v47, v23
	v_lshlrev_b64_e32 v[27:28], 3, v[28:29]
	s_wait_alu 0xfffd
	v_add_co_ci_u32_e32 v24, vcc_lo, v51, v24, vcc_lo
	v_add_co_u32 v43, vcc_lo, v47, v25
	v_mov_b32_e32 v34, v42
	s_wait_alu 0xfffd
	v_add_co_ci_u32_e32 v44, vcc_lo, v51, v26, vcc_lo
	v_lshlrev_b64_e32 v[25:26], 3, v[30:31]
	v_add_co_u32 v45, vcc_lo, v47, v27
	s_wait_alu 0xfffd
	v_add_co_ci_u32_e32 v46, vcc_lo, v51, v28, vcc_lo
	v_lshlrev_b64_e32 v[27:28], 3, v[33:34]
	s_delay_alu instid0(VALU_DEP_4) | instskip(SKIP_2) | instid1(VALU_DEP_3)
	v_add_co_u32 v33, vcc_lo, v47, v25
	s_wait_alu 0xfffd
	v_add_co_ci_u32_e32 v34, vcc_lo, v51, v26, vcc_lo
	v_add_co_u32 v50, vcc_lo, v47, v27
	s_wait_alu 0xfffd
	v_add_co_ci_u32_e32 v51, vcc_lo, v51, v28, vcc_lo
	s_clause 0x7
	global_load_b64 v[29:30], v[19:20], off
	global_load_b64 v[27:28], v[21:22], off
	;; [unrolled: 1-line block ×8, first 2 shown]
	v_dual_mov_b32 v33, v38 :: v_dual_mov_b32 v34, v40
.LBB0_13:
	s_or_b32 exec_lo, exec_lo, s2
.LBB0_14:
	s_wait_loadcnt 0xd
	v_dual_sub_f32 v35, v5, v7 :: v_dual_sub_f32 v36, v6, v8
	s_wait_loadcnt 0x9
	v_dual_sub_f32 v1, v3, v1 :: v_dual_sub_f32 v16, v14, v16
	;; [unrolled: 2-line block ×3, first 2 shown]
	v_fma_f32 v5, v5, 2.0, -v35
	s_delay_alu instid0(VALU_DEP_3) | instskip(SKIP_3) | instid1(VALU_DEP_4)
	v_fma_f32 v2, v3, 2.0, -v1
	v_dual_sub_f32 v37, v13, v15 :: v_dual_sub_f32 v38, v12, v10
	v_sub_f32_e32 v15, v11, v9
	v_fma_f32 v8, v6, 2.0, -v36
	v_sub_f32_e32 v2, v5, v2
	v_fma_f32 v3, v4, 2.0, -v7
	v_add_f32_e32 v4, v35, v7
	v_fma_f32 v10, v11, 2.0, -v15
	v_fma_f32 v11, v12, 2.0, -v38
	;; [unrolled: 1-line block ×3, first 2 shown]
	v_sub_f32_e32 v5, v36, v1
	v_fma_f32 v1, v13, 2.0, -v37
	v_fma_f32 v13, v14, 2.0, -v16
	v_sub_f32_e32 v3, v8, v3
	v_fma_f32 v30, v30, 2.0, -v32
	v_fma_f32 v9, v36, 2.0, -v5
	v_sub_f32_e32 v10, v1, v10
	s_wait_loadcnt 0x4
	v_dual_sub_f32 v11, v13, v11 :: v_dual_sub_f32 v36, v28, v26
	v_fma_f32 v7, v8, 2.0, -v3
	v_fma_f32 v8, v35, 2.0, -v4
	v_dual_sub_f32 v35, v27, v25 :: v_dual_add_f32 v14, v37, v38
	s_delay_alu instid0(VALU_DEP_4) | instskip(SKIP_2) | instid1(VALU_DEP_4)
	v_fma_f32 v26, v28, 2.0, -v36
	v_sub_f32_e32 v31, v29, v31
	v_fma_f32 v12, v1, 2.0, -v10
	v_fma_f32 v25, v27, 2.0, -v35
	;; [unrolled: 1-line block ×3, first 2 shown]
	v_sub_f32_e32 v26, v30, v26
	v_fma_f32 v1, v29, 2.0, -v31
	v_sub_f32_e32 v15, v16, v15
	s_wait_loadcnt 0x0
	v_dual_sub_f32 v37, v19, v21 :: v_dual_sub_f32 v38, v17, v23
	s_delay_alu instid0(VALU_DEP_3) | instskip(NEXT) | instid1(VALU_DEP_3)
	v_dual_sub_f32 v24, v18, v24 :: v_dual_sub_f32 v25, v1, v25
	v_fma_f32 v28, v16, 2.0, -v15
	v_add_f32_e32 v16, v31, v36
	v_sub_f32_e32 v36, v20, v22
	v_fma_f32 v23, v19, 2.0, -v37
	v_fma_f32 v29, v1, 2.0, -v25
	;; [unrolled: 1-line block ×3, first 2 shown]
	v_sub_f32_e32 v17, v32, v35
	v_fma_f32 v35, v20, 2.0, -v36
	v_fma_f32 v18, v18, 2.0, -v24
	v_mul_u32_u24_e32 v39, 0x2a0, v70
	v_sub_f32_e32 v21, v23, v1
	v_lshlrev_b32_e32 v1, 3, v71
	v_fma_f32 v19, v31, 2.0, -v16
	v_dual_sub_f32 v22, v35, v18 :: v_dual_add_f32 v31, v37, v24
	v_fma_f32 v20, v32, 2.0, -v17
	s_delay_alu instid0(VALU_DEP_4)
	v_add3_u32 v18, 0, v39, v1
	v_sub_f32_e32 v32, v36, v38
	v_mul_i32_i24_e32 v38, 0x2a0, v74
	v_fma_f32 v13, v13, 2.0, -v11
	v_fma_f32 v30, v30, 2.0, -v26
	ds_store_2addr_b64 v18, v[2:3], v[4:5] offset0:42 offset1:63
	v_and_b32_e32 v2, 3, v70
	ds_store_2addr_b64 v18, v[6:7], v[8:9] offset1:21
	v_mul_i32_i24_e32 v6, 0x2a0, v75
	v_mul_i32_i24_e32 v8, 0x2a0, v76
	v_add3_u32 v7, 0, v38, v1
	v_mul_u32_u24_e32 v2, 3, v2
	v_fma_f32 v23, v23, 2.0, -v21
	v_add3_u32 v3, 0, v6, v1
	v_fma_f32 v24, v35, 2.0, -v22
	v_fma_f32 v35, v37, 2.0, -v31
	v_lshlrev_b32_e32 v2, 3, v2
	v_fma_f32 v36, v36, 2.0, -v32
	v_add3_u32 v4, 0, v8, v1
	ds_store_2addr_b64 v7, v[12:13], v[27:28] offset1:21
	ds_store_2addr_b64 v7, v[10:11], v[14:15] offset0:42 offset1:63
	ds_store_2addr_b64 v3, v[29:30], v[19:20] offset1:21
	ds_store_2addr_b64 v3, v[25:26], v[16:17] offset0:42 offset1:63
	;; [unrolled: 2-line block ×3, first 2 shown]
	global_wb scope:SCOPE_SE
	s_wait_dscnt 0x0
	s_barrier_signal -1
	s_barrier_wait -1
	global_inv scope:SCOPE_SE
	s_clause 0x1
	global_load_b128 v[12:15], v2, s[14:15]
	global_load_b64 v[39:40], v2, s[14:15] offset:16
	v_mul_u32_u24_e32 v2, 0xa8, v70
	v_mul_i32_i24_e32 v3, 0xa8, v73
	v_mul_i32_i24_e32 v4, 0xa8, v74
	v_lshl_or_b32 v8, v70, 2, v70
	v_lshl_or_b32 v11, v76, 2, v70
	v_add3_u32 v2, 0, v2, v1
	v_add3_u32 v3, 0, v3, v1
	ds_load_b64 v[41:42], v2
	ds_load_b64 v[43:44], v3
	v_add_nc_u32_e32 v24, 0x2400, v2
	v_add3_u32 v5, 0, v4, v1
	v_and_b32_e32 v4, 51, v8
	v_add_nc_u32_e32 v8, 0x5e80, v2
	v_lshl_or_b32 v9, v74, 2, v70
	ds_load_2addr_b32 v[45:46], v24 offset0:216 offset1:217
	v_and_b32_e32 v20, 0x7ff3, v11
	v_lshl_or_b32 v10, v75, 2, v70
	v_mul_i32_i24_e32 v6, 0xa8, v75
	v_and_b32_e32 v16, 0x7ff3, v9
	v_mul_i32_i24_e32 v7, 0xa8, v76
	v_add_nc_u32_e32 v25, 0x2f40, v2
	v_and_b32_e32 v17, 0x7ff3, v10
	v_add3_u32 v6, 0, v6, v1
	v_mul_u32_u24_e32 v26, 0xa8, v16
	v_add_nc_u32_e32 v9, 0x6e40, v2
	v_add3_u32 v7, 0, v7, v1
	v_mul_u32_u24_e32 v27, 0xa8, v17
	v_and_b32_e32 v47, 15, v76
	v_add3_u32 v58, 0, v26, v1
	v_cmp_gt_u32_e64 s2, 0x54, v0
	s_mov_b32 s16, 0
	v_add3_u32 v59, 0, v27, v1
                                        ; kill: def $vgpr0 killed $sgpr0 killed $exec
	s_wait_loadcnt_dscnt 0x100
	v_dual_mul_f32 v62, v13, v43 :: v_dual_mul_f32 v67, v46, v13
	v_mul_u32_u24_e32 v28, 0xa8, v20
	ds_load_2addr_b64 v[20:23], v8 offset1:252
	v_add_nc_u32_e32 v10, 0x3f00, v2
	v_dual_mul_f32 v68, v13, v45 :: v_dual_add_nc_u32 v11, 0x4ec0, v2
	v_add3_u32 v60, 0, v28, v1
	v_lshlrev_b32_e32 v57, 3, v47
	v_mul_f32_e32 v61, v13, v44
	s_delay_alu instid0(VALU_DEP_1)
	v_fmac_f32_e32 v61, v12, v43
	v_fma_f32 v43, v12, v44, -v62
	s_wait_loadcnt_dscnt 0x0
	v_mul_f32_e32 v66, v40, v20
	v_mul_f32_e32 v79, v22, v40
	ds_load_2addr_b64 v[16:19], v10 offset1:252
	v_mul_f32_e32 v78, v23, v40
	ds_load_b64 v[50:51], v5
	ds_load_b64 v[52:53], v6
	ds_load_2addr_b64 v[24:27], v25 offset1:252
	ds_load_2addr_b64 v[28:31], v11 offset1:252
	;; [unrolled: 1-line block ×3, first 2 shown]
	ds_load_b64 v[54:55], v7
	v_dual_mul_f32 v65, v40, v21 :: v_dual_and_b32 v32, 15, v75
	v_mul_u32_u24_e32 v4, 0xa8, v4
	v_fmac_f32_e32 v78, v22, v39
	global_wb scope:SCOPE_SE
	s_wait_dscnt 0x0
	s_barrier_signal -1
	v_fmac_f32_e32 v65, v39, v20
	v_fma_f32 v20, v46, v12, -v68
	v_add3_u32 v4, 0, v4, v1
	s_barrier_wait -1
	global_inv scope:SCOPE_SE
	v_mul_f32_e32 v80, v25, v13
	v_mul_f32_e32 v63, v15, v17
	;; [unrolled: 1-line block ×3, first 2 shown]
	v_dual_mul_f32 v77, v18, v15 :: v_dual_lshlrev_b32 v56, 3, v32
	v_mul_f32_e32 v69, v19, v15
	v_dual_mul_f32 v81, v24, v13 :: v_dual_mul_f32 v82, v29, v15
	v_mul_f32_e32 v85, v35, v40
	v_mul_f32_e32 v83, v28, v15
	;; [unrolled: 1-line block ×5, first 2 shown]
	v_dual_mul_f32 v87, v31, v15 :: v_dual_mul_f32 v88, v38, v40
	v_dual_mul_f32 v15, v30, v15 :: v_dual_mul_f32 v40, v37, v40
	v_dual_fmac_f32 v63, v14, v16 :: v_dual_fmac_f32 v82, v28, v14
	v_fma_f32 v16, v14, v17, -v64
	v_fma_f32 v17, v39, v21, -v66
	v_dual_fmac_f32 v67, v12, v45 :: v_dual_fmac_f32 v84, v35, v39
	v_dual_fmac_f32 v69, v18, v14 :: v_dual_fmac_f32 v80, v24, v12
	v_fma_f32 v18, v19, v14, -v77
	v_fma_f32 v19, v23, v39, -v79
	v_fma_f32 v21, v25, v12, -v81
	v_fma_f32 v22, v29, v14, -v83
	v_fma_f32 v23, v36, v39, -v85
	v_dual_fmac_f32 v86, v26, v12 :: v_dual_sub_f32 v25, v41, v63
	v_fma_f32 v24, v27, v12, -v13
	v_dual_fmac_f32 v87, v30, v14 :: v_dual_fmac_f32 v88, v37, v39
	v_fma_f32 v12, v31, v14, -v15
	v_fma_f32 v13, v38, v39, -v40
	v_dual_sub_f32 v26, v42, v16 :: v_dual_sub_f32 v15, v43, v17
	v_dual_sub_f32 v14, v61, v65 :: v_dual_sub_f32 v17, v20, v19
	;; [unrolled: 1-line block ×7, first 2 shown]
	v_sub_f32_e32 v22, v86, v88
	v_fma_f32 v39, v41, 2.0, -v25
	v_fma_f32 v40, v42, 2.0, -v26
	;; [unrolled: 1-line block ×4, first 2 shown]
	v_dual_add_f32 v12, v25, v15 :: v_dual_sub_f32 v13, v26, v14
	v_fma_f32 v41, v50, 2.0, -v27
	v_fma_f32 v42, v51, 2.0, -v28
	;; [unrolled: 1-line block ×4, first 2 shown]
	v_dual_add_f32 v14, v27, v17 :: v_dual_sub_f32 v15, v28, v16
	v_fma_f32 v44, v52, 2.0, -v30
	v_fma_f32 v45, v53, 2.0, -v31
	;; [unrolled: 1-line block ×4, first 2 shown]
	v_sub_f32_e32 v17, v31, v18
	v_fma_f32 v51, v54, 2.0, -v37
	v_fma_f32 v52, v55, 2.0, -v38
	;; [unrolled: 1-line block ×4, first 2 shown]
	v_dual_sub_f32 v20, v39, v29 :: v_dual_sub_f32 v21, v40, v35
	v_dual_add_f32 v16, v30, v19 :: v_dual_sub_f32 v29, v45, v50
	v_dual_add_f32 v18, v37, v23 :: v_dual_sub_f32 v19, v38, v22
	v_fma_f32 v22, v25, 2.0, -v12
	v_dual_sub_f32 v24, v41, v36 :: v_dual_sub_f32 v25, v42, v43
	v_fma_f32 v23, v26, 2.0, -v13
	v_fma_f32 v26, v27, 2.0, -v14
	;; [unrolled: 1-line block ×3, first 2 shown]
	v_dual_sub_f32 v28, v44, v46 :: v_dual_sub_f32 v35, v51, v53
	v_sub_f32_e32 v36, v52, v54
	v_fma_f32 v39, v39, 2.0, -v20
	v_fma_f32 v40, v40, 2.0, -v21
	;; [unrolled: 1-line block ×12, first 2 shown]
	ds_store_2addr_b64 v4, v[20:21], v[12:13] offset0:168 offset1:252
	ds_store_2addr_b64 v4, v[39:40], v[22:23] offset1:84
	ds_store_2addr_b64 v58, v[41:42], v[26:27] offset1:84
	ds_store_2addr_b64 v58, v[24:25], v[14:15] offset0:168 offset1:252
	ds_store_2addr_b64 v59, v[43:44], v[30:31] offset1:84
	ds_store_2addr_b64 v59, v[28:29], v[16:17] offset0:168 offset1:252
	;; [unrolled: 2-line block ×3, first 2 shown]
	v_and_b32_e32 v13, 15, v72
	global_wb scope:SCOPE_SE
	s_wait_dscnt 0x0
	s_barrier_signal -1
	s_barrier_wait -1
	global_inv scope:SCOPE_SE
	s_clause 0x1
	global_load_b64 v[30:31], v56, s[14:15] offset:96
	global_load_b64 v[35:36], v57, s[14:15] offset:96
	v_and_b32_e32 v12, 15, v74
	v_lshlrev_b32_e32 v56, 3, v70
	v_and_b32_e32 v15, 15, v34
	v_lshlrev_b32_e32 v28, 1, v74
	v_lshlrev_b32_e32 v58, 1, v34
	;; [unrolled: 1-line block ×3, first 2 shown]
	global_load_b64 v[39:40], v56, s[14:15] offset:96
	v_mul_i32_i24_e32 v17, 0xa8, v33
	v_and_or_b32 v12, 0x3fe0, v28, v12
	v_and_or_b32 v21, 0x3fe0, v58, v15
	global_load_b64 v[37:38], v4, s[14:15] offset:96
	v_and_b32_e32 v14, 15, v33
	v_lshlrev_b32_e32 v4, 3, v13
	v_lshlrev_b32_e32 v57, 1, v33
	v_mul_u32_u24_e32 v22, 0xa8, v12
	v_mul_i32_i24_e32 v18, 0xa8, v34
	v_and_b32_e32 v65, 31, v34
	global_load_b64 v[41:42], v4, s[14:15] offset:96
	v_lshlrev_b32_e32 v16, 3, v14
	v_lshlrev_b32_e32 v4, 3, v15
	s_clause 0x1
	global_load_b64 v[43:44], v16, s[14:15] offset:96
	global_load_b64 v[45:46], v4, s[14:15] offset:96
	v_lshlrev_b32_e32 v4, 1, v72
	v_and_or_b32 v20, 0x3fe0, v57, v14
	v_mul_i32_i24_e32 v16, 0xa8, v72
	v_lshlrev_b32_e32 v78, 1, v76
	v_add3_u32 v66, 0, v17, v1
	v_and_or_b32 v19, 0x3fe0, v4, v13
	ds_load_2addr_b64 v[12:15], v11 offset1:252
	v_lshlrev_b32_e32 v79, 1, v75
	v_add3_u32 v29, 0, v16, v1
	v_add3_u32 v67, 0, v18, v1
	v_and_or_b32 v17, 0x3fe0, v78, v47
	v_mul_u32_u24_e32 v19, 0xa8, v19
	v_mul_u32_u24_e32 v20, 0xa8, v20
	;; [unrolled: 1-line block ×3, first 2 shown]
	v_and_b32_e32 v64, 31, v33
	v_mul_u32_u24_e32 v17, 0xa8, v17
	v_add3_u32 v69, 0, v22, v1
	v_add3_u32 v83, 0, v19, v1
	;; [unrolled: 1-line block ×5, first 2 shown]
	s_wait_loadcnt_dscnt 0x600
	v_mul_f32_e32 v86, v31, v13
	s_wait_loadcnt 0x5
	v_dual_mul_f32 v34, v36, v14 :: v_dual_lshlrev_b32 v77, 1, v73
	v_and_or_b32 v16, 0x3fe0, v79, v32
	v_mul_f32_e32 v31, v31, v12
	v_fmac_f32_e32 v86, v30, v12
	s_delay_alu instid0(VALU_DEP_4)
	v_and_or_b32 v18, 0x3fe0, v77, v70
	v_mul_f32_e32 v87, v36, v15
	v_mul_u32_u24_e32 v16, 0xa8, v16
	v_fma_f32 v36, v30, v13, -v31
	v_fma_f32 v88, v35, v15, -v34
	v_mul_u32_u24_e32 v18, 0xa8, v18
	v_fmac_f32_e32 v87, v35, v14
	v_add3_u32 v80, 0, v16, v1
	s_delay_alu instid0(VALU_DEP_3)
	v_add3_u32 v82, 0, v18, v1
	ds_load_b64 v[32:33], v2
	ds_load_2addr_b64 v[16:19], v10 offset1:252
	ds_load_2addr_b64 v[20:23], v8 offset1:252
	ds_load_b64 v[50:51], v5
	ds_load_b64 v[52:53], v3
	;; [unrolled: 1-line block ×3, first 2 shown]
	ds_load_2addr_b64 v[24:27], v9 offset1:252
	v_and_b32_e32 v59, 31, v74
	ds_load_b64 v[12:13], v6
	ds_load_b64 v[14:15], v7
	;; [unrolled: 1-line block ×4, first 2 shown]
	v_and_b32_e32 v61, 31, v76
	v_and_b32_e32 v63, 31, v72
	;; [unrolled: 1-line block ×3, first 2 shown]
	global_wb scope:SCOPE_SE
	s_wait_loadcnt_dscnt 0x0
	s_barrier_signal -1
	s_barrier_wait -1
	global_inv scope:SCOPE_SE
	v_mul_f32_e32 v89, v38, v19
	v_mul_f32_e32 v38, v38, v18
	v_dual_mul_f32 v90, v40, v17 :: v_dual_lshlrev_b32 v47, 3, v59
	v_mul_f32_e32 v91, v40, v16
	v_mul_f32_e32 v92, v21, v40
	v_dual_fmac_f32 v89, v37, v18 :: v_dual_mul_f32 v18, v20, v40
	v_fma_f32 v19, v37, v19, -v38
	v_dual_mul_f32 v37, v23, v42 :: v_dual_mul_f32 v38, v25, v44
	v_mul_f32_e32 v40, v24, v44
	v_fmac_f32_e32 v90, v39, v16
	v_fma_f32 v17, v39, v17, -v91
	v_mul_f32_e32 v16, v22, v42
	v_mul_f32_e32 v42, v27, v46
	v_fmac_f32_e32 v92, v20, v39
	v_fma_f32 v39, v21, v39, -v18
	v_mul_f32_e32 v18, v26, v46
	v_dual_fmac_f32 v37, v22, v41 :: v_dual_fmac_f32 v38, v24, v43
	v_fma_f32 v40, v25, v43, -v40
	v_fma_f32 v41, v23, v41, -v16
	v_fmac_f32_e32 v42, v26, v45
	v_fma_f32 v43, v27, v45, -v18
	v_dual_sub_f32 v16, v32, v90 :: v_dual_sub_f32 v17, v33, v17
	v_dual_sub_f32 v18, v50, v89 :: v_dual_sub_f32 v19, v51, v19
	;; [unrolled: 1-line block ×3, first 2 shown]
	v_sub_f32_e32 v26, v54, v37
	v_dual_sub_f32 v36, v30, v38 :: v_dual_sub_f32 v37, v31, v40
	v_dual_sub_f32 v25, v53, v39 :: v_dual_and_b32 v62, 31, v73
	v_dual_sub_f32 v22, v14, v87 :: v_dual_sub_f32 v23, v15, v88
	v_dual_sub_f32 v27, v55, v41 :: v_dual_lshlrev_b32 v68, 3, v60
	v_sub_f32_e32 v24, v52, v92
	v_dual_sub_f32 v38, v34, v42 :: v_dual_sub_f32 v39, v35, v43
	v_fma_f32 v32, v32, 2.0, -v16
	v_fma_f32 v33, v33, 2.0, -v17
	;; [unrolled: 1-line block ×16, first 2 shown]
	ds_store_b64 v2, v[32:33]
	ds_store_b64 v2, v[16:17] offset:2688
	ds_store_b64 v69, v[40:41]
	ds_store_b64 v69, v[18:19] offset:2688
	;; [unrolled: 2-line block ×8, first 2 shown]
	global_wb scope:SCOPE_SE
	s_wait_dscnt 0x0
	s_barrier_signal -1
	s_barrier_wait -1
	global_inv scope:SCOPE_SE
	s_clause 0x2
	global_load_b64 v[24:25], v56, s[14:15] offset:224
	global_load_b64 v[30:31], v68, s[14:15] offset:224
	;; [unrolled: 1-line block ×3, first 2 shown]
	v_lshlrev_b32_e32 v12, 3, v61
	v_lshlrev_b32_e32 v13, 3, v62
	;; [unrolled: 1-line block ×3, first 2 shown]
	v_and_or_b32 v15, 0x3fc0, v77, v62
	v_and_or_b32 v16, 0x3fc0, v4, v63
	global_load_b64 v[32:33], v12, s[14:15] offset:224
	v_lshlrev_b32_e32 v12, 3, v64
	s_clause 0x1
	global_load_b64 v[34:35], v13, s[14:15] offset:224
	global_load_b64 v[36:37], v14, s[14:15] offset:224
	v_lshlrev_b32_e32 v13, 3, v65
	s_clause 0x1
	global_load_b64 v[38:39], v12, s[14:15] offset:224
	global_load_b64 v[40:41], v13, s[14:15] offset:224
	v_and_or_b32 v12, 0x3fc0, v28, v59
	v_and_or_b32 v13, 0x3fc0, v79, v60
	;; [unrolled: 1-line block ×5, first 2 shown]
	v_mul_u32_u24_e32 v12, 0xa8, v12
	v_mul_u32_u24_e32 v13, 0xa8, v13
	;; [unrolled: 1-line block ×7, first 2 shown]
	v_add3_u32 v68, 0, v12, v1
	v_add3_u32 v69, 0, v13, v1
	;; [unrolled: 1-line block ×3, first 2 shown]
	ds_load_2addr_b64 v[12:15], v10 offset1:252
	v_add3_u32 v81, 0, v19, v1
	v_add3_u32 v82, 0, v16, v1
	;; [unrolled: 1-line block ×3, first 2 shown]
	ds_load_2addr_b64 v[16:19], v11 offset1:252
	v_add3_u32 v1, 0, v20, v1
	ds_load_b64 v[42:43], v2
	ds_load_2addr_b64 v[20:23], v8 offset1:252
	ds_load_b64 v[44:45], v5
	ds_load_b64 v[46:47], v3
	;; [unrolled: 1-line block ×3, first 2 shown]
	ds_load_2addr_b64 v[8:11], v9 offset1:252
	ds_load_b64 v[54:55], v6
	ds_load_b64 v[56:57], v7
	;; [unrolled: 1-line block ×4, first 2 shown]
	v_add_nc_u32_e32 v63, 0x31e0, v2
	v_add_nc_u32_e32 v65, 0x41a0, v2
	global_wb scope:SCOPE_SE
	s_wait_loadcnt_dscnt 0x0
	s_barrier_signal -1
	s_barrier_wait -1
	global_inv scope:SCOPE_SE
	v_mul_f32_e32 v51, v27, v15
	v_mul_f32_e32 v27, v27, v14
	s_delay_alu instid0(VALU_DEP_2)
	v_fmac_f32_e32 v51, v26, v14
	v_mul_f32_e32 v67, v33, v19
	v_mul_f32_e32 v50, v25, v13
	;; [unrolled: 1-line block ×7, first 2 shown]
	v_dual_mul_f32 v37, v22, v37 :: v_dual_mul_f32 v86, v9, v39
	v_mul_f32_e32 v39, v8, v39
	v_fma_f32 v14, v26, v15, -v27
	v_mul_f32_e32 v66, v31, v17
	v_mul_f32_e32 v31, v31, v16
	v_fmac_f32_e32 v67, v32, v18
	v_fmac_f32_e32 v50, v24, v12
	v_fma_f32 v12, v24, v13, -v25
	v_dual_mul_f32 v13, v10, v41 :: v_dual_add_nc_u32 v62, 0x5400, v2
	v_dual_fmac_f32 v85, v22, v36 :: v_dual_mul_f32 v24, v11, v41
	v_fma_f32 v15, v30, v17, -v31
	v_fma_f32 v17, v21, v34, -v35
	;; [unrolled: 1-line block ×4, first 2 shown]
	v_dual_sub_f32 v11, v45, v14 :: v_dual_fmac_f32 v66, v30, v16
	v_fma_f32 v16, v32, v19, -v33
	v_fma_f32 v19, v23, v36, -v37
	v_dual_sub_f32 v13, v55, v15 :: v_dual_add_nc_u32 v64, 0x63c0, v2
	v_sub_f32_e32 v9, v43, v12
	s_delay_alu instid0(VALU_DEP_4)
	v_sub_f32_e32 v15, v57, v16
	v_dual_fmac_f32 v24, v10, v40 :: v_dual_sub_f32 v17, v47, v17
	v_dual_fmac_f32 v84, v20, v34 :: v_dual_sub_f32 v19, v53, v19
	v_dual_sub_f32 v21, v59, v21 :: v_dual_fmac_f32 v86, v8, v38
	v_sub_f32_e32 v8, v42, v50
	v_dual_sub_f32 v10, v44, v51 :: v_dual_sub_f32 v51, v61, v22
	v_sub_f32_e32 v12, v54, v66
	v_sub_f32_e32 v14, v56, v67
	;; [unrolled: 1-line block ×6, first 2 shown]
	v_fma_f32 v22, v42, 2.0, -v8
	v_fma_f32 v23, v43, 2.0, -v9
	;; [unrolled: 1-line block ×16, first 2 shown]
	ds_store_b64 v2, v[22:23]
	ds_store_b64 v2, v[8:9] offset:5376
	ds_store_b64 v68, v[24:25]
	ds_store_b64 v68, v[10:11] offset:5376
	;; [unrolled: 2-line block ×8, first 2 shown]
	global_wb scope:SCOPE_SE
	s_wait_dscnt 0x0
	s_barrier_signal -1
	s_barrier_wait -1
	global_inv scope:SCOPE_SE
	ds_load_2addr_stride64_b64 v[8:11], v2 offset1:21
	ds_load_2addr_b64 v[12:15], v62 offset1:252
	ds_load_2addr_b64 v[16:19], v63 offset1:252
	;; [unrolled: 1-line block ×3, first 2 shown]
	ds_load_b64 v[54:55], v7
	ds_load_2addr_b64 v[24:27], v65 offset1:252
	ds_load_b64 v[56:57], v6
	ds_load_b64 v[58:59], v5
	;; [unrolled: 1-line block ×3, first 2 shown]
	ds_load_b64 v[60:61], v2 offset:29568
	v_lshlrev_b32_e32 v5, 1, v70
                                        ; implicit-def: $vgpr3
	s_and_saveexec_b32 s17, s2
	s_cbranch_execz .LBB0_16
; %bb.15:
	v_add_nc_u32_e32 v0, 0x160, v2
	ds_load_b64 v[50:51], v29
	ds_load_2addr_stride64_b64 v[0:3], v0 offset0:40 offset1:61
.LBB0_16:
	s_wait_alu 0xfffe
	s_or_b32 exec_lo, exec_lo, s17
	v_and_b32_e32 v6, 0x7e, v77
	s_load_b64 s[0:1], s[0:1], 0x8
	v_or_b32_e32 v80, 64, v70
	v_or_b32_e32 v82, 0x80, v70
	;; [unrolled: 1-line block ×3, first 2 shown]
	v_lshlrev_b32_e32 v6, 3, v6
	s_and_not1_b32 vcc_lo, exec_lo, s3
	v_mul_lo_u32 v66, v48, v80
	v_mul_lo_u32 v83, v48, v82
	global_load_b128 v[40:43], v6, s[14:15] offset:480
	v_lshlrev_b32_e32 v5, 3, v5
	v_lshrrev_b32_e32 v85, 5, v66
	global_load_b128 v[44:47], v5, s[14:15] offset:480
	v_and_b32_e32 v7, 0x7e, v78
	v_mul_lo_u32 v5, v48, v74
	s_wait_loadcnt_dscnt 0x100
	v_mul_f32_e32 v96, v61, v43
	s_delay_alu instid0(VALU_DEP_3) | instskip(SKIP_2) | instid1(VALU_DEP_4)
	v_dual_mul_f32 v97, v27, v41 :: v_dual_lshlrev_b32 v6, 3, v7
	v_mul_f32_e32 v41, v26, v41
	v_mul_f32_e32 v43, v60, v43
	v_fmac_f32_e32 v96, v60, v42
	global_load_b128 v[36:39], v6, s[14:15] offset:480
	v_and_b32_e32 v6, 0x7e, v79
	v_and_b32_e32 v67, 0xff, v5
	v_fma_f32 v42, v61, v42, -v43
	v_lshrrev_b32_e32 v5, 5, v5
	v_fmac_f32_e32 v97, v26, v40
	v_fma_f32 v40, v27, v40, -v41
	s_wait_loadcnt 0x1
	v_mul_f32_e32 v103, v47, v13
	s_delay_alu instid0(VALU_DEP_1) | instskip(SKIP_3) | instid1(VALU_DEP_2)
	v_fmac_f32_e32 v103, v46, v12
	s_wait_loadcnt 0x0
	v_dual_mul_f32 v43, v37, v25 :: v_dual_lshlrev_b32 v6, 3, v6
	v_dual_mul_f32 v61, v23, v39 :: v_dual_mul_f32 v26, v37, v24
	v_fmac_f32_e32 v43, v36, v24
	global_load_b128 v[32:35], v6, s[14:15] offset:480
	v_and_b32_e32 v6, 0x7e, v28
	v_and_b32_e32 v84, 0xff, v66
	v_mul_f32_e32 v24, v22, v39
	v_dual_fmac_f32 v61, v22, v38 :: v_dual_and_b32 v88, 0xff, v83
	s_delay_alu instid0(VALU_DEP_4) | instskip(SKIP_1) | instid1(VALU_DEP_4)
	v_lshlrev_b32_e32 v6, 3, v6
	v_lshrrev_b32_e32 v83, 5, v83
	v_fma_f32 v38, v23, v38, -v24
	v_fma_f32 v60, v36, v25, -v26
	global_load_b128 v[28:31], v6, s[14:15] offset:480
	v_mul_lo_u32 v6, v48, v70
	v_and_b32_e32 v5, 0x7f8, v5
	s_delay_alu instid0(VALU_DEP_2) | instskip(SKIP_1) | instid1(VALU_DEP_2)
	v_and_b32_e32 v7, 0xff, v6
	v_lshrrev_b32_e32 v6, 5, v6
	v_lshlrev_b32_e32 v7, 3, v7
	s_wait_loadcnt 0x1
	s_delay_alu instid0(VALU_DEP_2) | instskip(SKIP_2) | instid1(VALU_DEP_3)
	v_dual_mul_f32 v39, v35, v21 :: v_dual_and_b32 v6, 0x7f8, v6
	v_mul_f32_e32 v35, v35, v20
	v_dual_mul_f32 v99, v33, v19 :: v_dual_and_b32 v4, 0x7e, v4
	v_fmac_f32_e32 v39, v34, v20
	s_delay_alu instid0(VALU_DEP_3) | instskip(NEXT) | instid1(VALU_DEP_3)
	v_fma_f32 v98, v34, v21, -v35
	v_fmac_f32_e32 v99, v32, v18
	s_delay_alu instid0(VALU_DEP_4)
	v_dual_mul_f32 v21, v33, v18 :: v_dual_lshlrev_b32 v4, 3, v4
	s_wait_loadcnt 0x0
	v_mul_f32_e32 v100, v29, v17
	s_wait_kmcnt 0x0
	s_clause 0x1
	global_load_b64 v[62:63], v7, s[0:1]
	global_load_b64 v[64:65], v6, s[0:1] offset:2048
	v_lshlrev_b32_e32 v6, 3, v67
	v_mul_lo_u32 v7, v48, v81
	s_clause 0x1
	global_load_b64 v[66:67], v6, s[0:1]
	global_load_b64 v[68:69], v5, s[0:1] offset:2048
	v_dual_mul_f32 v102, v31, v15 :: v_dual_lshlrev_b32 v5, 3, v84
	v_and_b32_e32 v6, 0x7f8, v85
	v_dual_fmac_f32 v100, v28, v16 :: v_dual_and_b32 v89, 0xff, v7
	s_clause 0x1
	global_load_b64 v[84:85], v5, s[0:1]
	global_load_b64 v[86:87], v6, s[0:1] offset:2048
	v_lshrrev_b32_e32 v5, 5, v7
	v_lshlrev_b32_e32 v6, 3, v88
	v_and_b32_e32 v7, 0x7f8, v83
	v_dual_fmac_f32 v102, v30, v14 :: v_dual_lshlrev_b32 v83, 3, v89
	s_delay_alu instid0(VALU_DEP_4)
	v_and_b32_e32 v5, 0x7f8, v5
	s_clause 0x3
	global_load_b64 v[88:89], v6, s[0:1]
	global_load_b64 v[90:91], v7, s[0:1] offset:2048
	global_load_b64 v[92:93], v83, s[0:1]
	global_load_b64 v[94:95], v5, s[0:1] offset:2048
	v_or_b32_e32 v83, 0x80, v74
	v_and_b32_e32 v37, 63, v76
	global_load_b128 v[4:7], v4, s[14:15] offset:480
	v_and_b32_e32 v27, 63, v75
	v_mul_lo_u32 v41, v48, v83
	v_or_b32_e32 v24, 0x80, v37
	v_mul_lo_u32 v22, v48, v37
	s_delay_alu instid0(VALU_DEP_4) | instskip(NEXT) | instid1(VALU_DEP_3)
	v_mul_lo_u32 v25, v48, v27
	v_mul_lo_u32 v36, v48, v24
	v_lshrrev_b32_e32 v24, 5, v41
	v_and_b32_e32 v20, 0xff, v41
	v_fma_f32 v41, v32, v19, -v21
	v_and_b32_e32 v18, 0xff, v22
	v_and_b32_e32 v33, 0xff, v25
	;; [unrolled: 1-line block ×3, first 2 shown]
	v_mul_f32_e32 v24, v29, v16
	v_mul_f32_e32 v16, v31, v14
	v_lshrrev_b32_e32 v25, 5, v25
	v_lshrrev_b32_e32 v19, 5, v22
	;; [unrolled: 1-line block ×3, first 2 shown]
	v_fma_f32 v101, v28, v17, -v24
	v_lshlrev_b32_e32 v24, 3, v18
	v_dual_mul_f32 v18, v47, v12 :: v_dual_mul_f32 v47, v45, v11
	v_lshlrev_b32_e32 v20, 3, v20
	v_fma_f32 v104, v30, v15, -v16
	s_clause 0x1
	global_load_b64 v[14:15], v20, s[0:1]
	global_load_b64 v[16:17], v21, s[0:1] offset:2048
	v_dual_mul_f32 v21, v45, v10 :: v_dual_lshlrev_b32 v22, 3, v33
	v_fmac_f32_e32 v47, v44, v10
	v_and_b32_e32 v25, 0x7f8, v25
	v_and_b32_e32 v20, 0x7f8, v19
	v_fma_f32 v46, v46, v13, -v18
	s_clause 0x1
	global_load_b64 v[12:13], v22, s[0:1]
	global_load_b64 v[18:19], v25, s[0:1] offset:2048
	v_fma_f32 v44, v44, v11, -v21
	v_and_b32_e32 v34, 0xff, v36
	s_wait_loadcnt 0xd
	v_mul_f32_e32 v22, v63, v65
	v_or_b32_e32 v26, 64, v27
	v_or_b32_e32 v27, 0x80, v27
	v_mul_f32_e32 v45, v62, v65
	v_and_b32_e32 v65, 63, v73
	v_fma_f32 v62, v62, v64, -v22
	v_mul_lo_u32 v26, v48, v26
	v_mul_lo_u32 v27, v48, v27
	v_fmac_f32_e32 v45, v63, v64
	s_wait_loadcnt 0xb
	v_mul_f32_e32 v63, v66, v69
	s_clause 0x1
	global_load_b64 v[10:11], v24, s[0:1]
	global_load_b64 v[20:21], v20, s[0:1] offset:2048
	v_and_b32_e32 v29, 0xff, v26
	v_lshrrev_b32_e32 v26, 5, v26
	v_and_b32_e32 v28, 0xff, v27
	v_lshrrev_b32_e32 v27, 5, v27
	s_wait_loadcnt 0x9
	v_dual_fmac_f32 v63, v67, v68 :: v_dual_mul_f32 v32, v89, v91
	v_dual_mul_f32 v26, v67, v69 :: v_dual_and_b32 v25, 0x7f8, v26
	v_or_b32_e32 v23, 64, v37
	v_and_b32_e32 v37, 0x7f8, v35
	s_wait_loadcnt 0x7
	v_mul_f32_e32 v36, v93, v95
	v_fma_f32 v66, v66, v68, -v26
	v_mul_lo_u32 v23, v48, v23
	v_lshlrev_b32_e32 v26, 3, v28
	v_mul_f32_e32 v28, v85, v87
	v_mul_f32_e32 v68, v84, v87
	v_fma_f32 v87, v92, v94, -v36
	s_delay_alu instid0(VALU_DEP_3)
	v_fma_f32 v69, v84, v86, -v28
	v_and_b32_e32 v30, 0xff, v23
	v_lshrrev_b32_e32 v31, 5, v23
	v_mul_f32_e32 v84, v88, v91
	v_fmac_f32_e32 v68, v85, v86
	v_fma_f32 v85, v88, v90, -v32
	v_lshlrev_b32_e32 v30, 3, v30
	s_delay_alu instid0(VALU_DEP_4)
	v_fmac_f32_e32 v84, v89, v90
	s_wait_loadcnt 0x4
	v_mul_f32_e32 v64, v15, v17
	v_mul_f32_e32 v17, v14, v17
	v_lshlrev_b32_e32 v24, 3, v29
	v_and_b32_e32 v29, 0x7f8, v27
	s_delay_alu instid0(VALU_DEP_4) | instskip(NEXT) | instid1(VALU_DEP_4)
	v_fma_f32 v88, v14, v16, -v64
	v_fmac_f32_e32 v17, v15, v16
	s_clause 0x1
	global_load_b64 v[22:23], v24, s[0:1]
	global_load_b64 v[24:25], v25, s[0:1] offset:2048
	s_wait_loadcnt 0x4
	v_mul_f32_e32 v15, v12, v19
	s_clause 0x1
	global_load_b64 v[26:27], v26, s[0:1]
	global_load_b64 v[28:29], v29, s[0:1] offset:2048
	v_mul_f32_e32 v86, v92, v95
	v_mul_f32_e32 v14, v13, v19
	v_fmac_f32_e32 v15, v13, v18
	v_and_b32_e32 v33, 0x7f8, v31
	v_lshlrev_b32_e32 v34, 3, v34
	v_fmac_f32_e32 v86, v93, v94
	v_and_b32_e32 v16, 63, v72
	v_mul_lo_u32 v19, v48, v65
	s_delay_alu instid0(VALU_DEP_2)
	v_or_b32_e32 v64, 64, v16
	s_wait_loadcnt 0x4
	v_mul_f32_e32 v13, v11, v21
	s_clause 0x1
	global_load_b64 v[30:31], v30, s[0:1]
	global_load_b64 v[32:33], v33, s[0:1] offset:2048
	s_wait_loadcnt 0x4
	v_mul_f32_e32 v89, v22, v25
	v_fma_f32 v12, v12, v18, -v14
	v_mul_f32_e32 v18, v10, v21
	v_or_b32_e32 v21, 0x80, v65
	v_fma_f32 v10, v10, v20, -v13
	v_or_b32_e32 v13, 0x80, v16
	v_or_b32_e32 v14, 64, v65
	v_fmac_f32_e32 v18, v11, v20
	v_mul_lo_u32 v11, v48, v16
	v_mul_lo_u32 v16, v48, v21
	v_mul_f32_e32 v21, v23, v25
	s_clause 0x1
	global_load_b64 v[34:35], v34, s[0:1]
	global_load_b64 v[36:37], v37, s[0:1] offset:2048
	v_mul_lo_u32 v14, v48, v14
	v_and_b32_e32 v25, 0xff, v19
	v_lshrrev_b32_e32 v19, 5, v19
	v_fma_f32 v90, v22, v24, -v21
	v_and_b32_e32 v21, 0xff, v11
	s_delay_alu instid0(VALU_DEP_4)
	v_dual_fmac_f32 v89, v23, v24 :: v_dual_lshlrev_b32 v22, 3, v25
	s_wait_loadcnt 0x4
	v_mul_f32_e32 v23, v27, v29
	v_dual_mul_f32 v24, v26, v29 :: v_dual_and_b32 v19, 0x7f8, v19
	v_mul_lo_u32 v20, v48, v64
	v_and_b32_e32 v25, 0xff, v14
	s_delay_alu instid0(VALU_DEP_4) | instskip(NEXT) | instid1(VALU_DEP_4)
	v_fma_f32 v29, v26, v28, -v23
	v_fmac_f32_e32 v24, v27, v28
	v_dual_add_f32 v28, v100, v102 :: v_dual_and_b32 v23, 0xff, v16
	v_lshlrev_b32_e32 v67, 3, v21
	v_mul_lo_u32 v13, v48, v13
	v_lshrrev_b32_e32 v14, 5, v14
	v_add_f32_e32 v27, v47, v103
	v_fma_f32 v94, -0.5, v28, v58
	v_lshlrev_b32_e32 v28, 3, v25
	v_lshrrev_b32_e32 v16, 5, v16
	v_lshrrev_b32_e32 v11, 5, v11
	v_fma_f32 v92, -0.5, v27, v8
	v_add_f32_e32 v27, v9, v44
	v_dual_add_f32 v25, v59, v101 :: v_dual_and_b32 v26, 0xff, v20
	v_lshrrev_b32_e32 v20, 5, v20
	v_and_b32_e32 v14, 0x7f8, v14
	v_and_b32_e32 v16, 0x7f8, v16
	s_delay_alu instid0(VALU_DEP_4) | instskip(SKIP_4) | instid1(VALU_DEP_2)
	v_dual_add_f32 v64, v99, v39 :: v_dual_lshlrev_b32 v105, 3, v26
	v_add_f32_e32 v26, v57, v41
	s_wait_loadcnt 0x2
	v_dual_mul_f32 v21, v31, v33 :: v_dual_and_b32 v106, 0x7f8, v20
	v_mul_f32_e32 v33, v30, v33
	v_fma_f32 v30, v30, v32, -v21
	s_delay_alu instid0(VALU_DEP_2)
	v_dual_fmac_f32 v33, v31, v32 :: v_dual_and_b32 v32, 0xff, v13
	v_lshrrev_b32_e32 v13, 5, v13
	s_wait_loadcnt 0x0
	v_mul_f32_e32 v21, v35, v37
	v_mul_f32_e32 v31, v34, v37
	v_add_f32_e32 v37, v54, v43
	s_delay_alu instid0(VALU_DEP_3) | instskip(NEXT) | instid1(VALU_DEP_3)
	v_fma_f32 v91, v34, v36, -v21
	v_fmac_f32_e32 v31, v35, v36
	v_dual_add_f32 v21, v44, v46 :: v_dual_sub_f32 v34, v101, v104
	v_dual_add_f32 v35, v8, v47 :: v_dual_add_f32 v8, v101, v104
	v_sub_f32_e32 v36, v47, v103
	s_delay_alu instid0(VALU_DEP_3)
	v_fma_f32 v93, -0.5, v21, v9
	v_sub_f32_e32 v9, v100, v102
	v_fmamk_f32 v95, v34, 0xbf5db3d7, v94
	v_dual_fmac_f32 v59, -0.5, v8 :: v_dual_fmac_f32 v94, 0x3f5db3d7, v34
	v_and_b32_e32 v11, 0x7f8, v11
	v_lshlrev_b32_e32 v34, 3, v23
	v_add_f32_e32 v23, v56, v99
	s_delay_alu instid0(VALU_DEP_4)
	v_fmamk_f32 v101, v9, 0x3f5db3d7, v59
	v_fmac_f32_e32 v59, 0xbf5db3d7, v9
	v_mul_f32_e32 v8, v94, v17
	v_fma_f32 v56, -0.5, v64, v56
	v_sub_f32_e32 v99, v99, v39
	v_and_b32_e32 v13, 0x7f8, v13
	s_delay_alu instid0(VALU_DEP_4)
	v_fma_f32 v21, v59, v88, -v8
	global_load_b64 v[8:9], v11, s[0:1] offset:2048
	v_dual_add_f32 v11, v58, v100 :: v_dual_sub_f32 v58, v41, v98
	v_sub_f32_e32 v100, v60, v38
	v_mul_f32_e32 v20, v59, v17
	v_add_f32_e32 v27, v27, v46
	v_dual_sub_f32 v17, v44, v46 :: v_dual_add_f32 v44, v55, v60
	v_add_f32_e32 v35, v35, v103
	v_add_f32_e32 v11, v11, v102
	;; [unrolled: 1-line block ×5, first 2 shown]
	v_sub_f32_e32 v102, v43, v61
	v_dual_add_f32 v38, v44, v38 :: v_dual_add_f32 v59, v25, v104
	v_dual_add_f32 v41, v41, v98 :: v_dual_add_f32 v98, v43, v61
	v_dual_mul_f32 v25, v35, v45 :: v_dual_sub_f32 v44, v97, v96
	v_add_f32_e32 v61, v37, v61
	v_fmamk_f32 v103, v58, 0xbf5db3d7, v56
	v_dual_fmac_f32 v56, 0x3f5db3d7, v58 :: v_dual_add_f32 v37, v52, v97
	v_fmac_f32_e32 v55, -0.5, v23
	v_fma_f32 v54, -0.5, v98, v54
	v_fmac_f32_e32 v57, -0.5, v41
	v_add_f32_e32 v41, v97, v96
	v_add_f32_e32 v96, v37, v96
	v_dual_mul_f32 v46, v27, v45 :: v_dual_fmamk_f32 v45, v17, 0xbf5db3d7, v92
	v_dual_fmac_f32 v92, 0x3f5db3d7, v17 :: v_dual_fmamk_f32 v17, v36, 0x3f5db3d7, v93
	v_dual_fmac_f32 v93, 0xbf5db3d7, v36 :: v_dual_mul_f32 v36, v60, v15
	v_fma_f32 v47, v27, v62, -v25
	s_clause 0x1
	global_load_b64 v[22:23], v22, s[0:1]
	global_load_b64 v[25:26], v19, s[0:1] offset:2048
	v_add_f32_e32 v19, v53, v40
	v_mul_f32_e32 v27, v11, v63
	v_fmac_f32_e32 v46, v35, v62
	v_add_f32_e32 v35, v40, v42
	v_sub_f32_e32 v40, v40, v42
	v_add_f32_e32 v97, v19, v42
	v_mul_f32_e32 v42, v59, v63
	v_fmamk_f32 v98, v100, 0xbf5db3d7, v54
	v_fmac_f32_e32 v54, 0x3f5db3d7, v100
	v_fma_f32 v43, v59, v66, -v27
	s_clause 0x2
	global_load_b64 v[27:28], v28, s[0:1]
	global_load_b64 v[62:63], v14, s[0:1] offset:2048
	global_load_b64 v[64:65], v34, s[0:1]
	v_mul_f32_e32 v34, v38, v18
	v_fmac_f32_e32 v42, v11, v66
	v_fmac_f32_e32 v36, v39, v12
	v_fmamk_f32 v104, v99, 0x3f5db3d7, v57
	s_delay_alu instid0(VALU_DEP_4)
	v_dual_fmac_f32 v57, 0xbf5db3d7, v99 :: v_dual_fmac_f32 v34, v61, v10
	v_dual_fmac_f32 v53, -0.5, v35 :: v_dual_mul_f32 v58, v17, v68
	v_mul_f32_e32 v11, v39, v15
	s_clause 0x1
	global_load_b64 v[14:15], v67, s[0:1]
	global_load_b64 v[66:67], v16, s[0:1] offset:2048
	v_fma_f32 v52, -0.5, v41, v52
	v_fmac_f32_e32 v20, v94, v88
	v_fma_f32 v37, v60, v12, -v11
	v_dual_mul_f32 v12, v61, v18 :: v_dual_lshlrev_b32 v11, 3, v32
	v_mul_f32_e32 v32, v92, v84
	v_fmac_f32_e32 v58, v45, v69
	v_mul_f32_e32 v60, v93, v84
	s_delay_alu instid0(VALU_DEP_4) | instskip(SKIP_2) | instid1(VALU_DEP_4)
	v_fma_f32 v35, v38, v10, -v12
	v_mul_f32_e32 v12, v45, v68
	v_fmamk_f32 v68, v44, 0x3f5db3d7, v53
	v_dual_fmac_f32 v53, 0xbf5db3d7, v44 :: v_dual_fmac_f32 v60, v92, v85
	v_mul_f32_e32 v44, v101, v86
	s_delay_alu instid0(VALU_DEP_4)
	v_fma_f32 v59, v17, v69, -v12
	s_clause 0x3
	global_load_b64 v[16:17], v105, s[0:1]
	global_load_b64 v[18:19], v106, s[0:1] offset:2048
	global_load_b64 v[10:11], v11, s[0:1]
	global_load_b64 v[12:13], v13, s[0:1] offset:2048
	v_fmamk_f32 v99, v102, 0x3f5db3d7, v55
	v_fma_f32 v61, v93, v85, -v32
	v_mul_f32_e32 v32, v95, v86
	v_dual_fmac_f32 v55, 0xbf5db3d7, v102 :: v_dual_fmac_f32 v44, v95, v87
	v_fmamk_f32 v100, v40, 0xbf5db3d7, v52
	v_fmac_f32_e32 v52, 0x3f5db3d7, v40
	s_delay_alu instid0(VALU_DEP_4) | instskip(SKIP_3) | instid1(VALU_DEP_3)
	v_fma_f32 v45, v101, v87, -v32
	v_mul_f32_e32 v40, v104, v89
	v_mul_f32_e32 v32, v99, v33
	v_dual_mul_f32 v39, v103, v89 :: v_dual_mul_f32 v38, v57, v24
	v_dual_mul_f32 v33, v98, v33 :: v_dual_fmac_f32 v40, v103, v90
	v_mul_f32_e32 v84, v56, v24
	v_mul_f32_e32 v24, v55, v31
	s_delay_alu instid0(VALU_DEP_4)
	v_fma_f32 v41, v104, v90, -v39
	v_fmac_f32_e32 v38, v56, v29
	v_fma_f32 v33, v99, v30, -v33
	v_fma_f32 v39, v57, v29, -v84
	s_wait_loadcnt 0x9
	v_dual_fmac_f32 v24, v54, v91 :: v_dual_mul_f32 v69, v23, v26
	v_mul_f32_e32 v26, v22, v26
	s_delay_alu instid0(VALU_DEP_2) | instskip(NEXT) | instid1(VALU_DEP_2)
	v_fma_f32 v22, v22, v25, -v69
	v_dual_fmac_f32 v26, v23, v25 :: v_dual_mul_f32 v23, v54, v31
	s_wait_loadcnt 0x7
	v_mul_f32_e32 v29, v28, v63
	s_delay_alu instid0(VALU_DEP_2) | instskip(SKIP_1) | instid1(VALU_DEP_1)
	v_fma_f32 v25, v55, v91, -v23
	v_mul_f32_e32 v23, v27, v63
	v_fmac_f32_e32 v23, v28, v62
	v_fmac_f32_e32 v32, v98, v30
	v_mul_f32_e32 v30, v97, v26
	v_mul_f32_e32 v26, v96, v26
	s_wait_loadcnt 0x4
	v_mul_f32_e32 v54, v64, v67
	s_delay_alu instid0(VALU_DEP_3) | instskip(NEXT) | instid1(VALU_DEP_3)
	v_fmac_f32_e32 v30, v96, v22
	v_fma_f32 v31, v97, v22, -v26
	v_fma_f32 v22, v27, v62, -v29
	v_mul_f32_e32 v27, v65, v67
	v_fmac_f32_e32 v54, v65, v66
	v_mul_f32_e32 v26, v68, v23
	v_mul_f32_e32 v23, v100, v23
	s_delay_alu instid0(VALU_DEP_4) | instskip(NEXT) | instid1(VALU_DEP_4)
	v_fma_f32 v29, v64, v66, -v27
	v_mul_f32_e32 v28, v53, v54
	v_mul_f32_e32 v54, v52, v54
	v_fmac_f32_e32 v26, v100, v22
	v_fma_f32 v27, v68, v22, -v23
	s_delay_alu instid0(VALU_DEP_4) | instskip(NEXT) | instid1(VALU_DEP_4)
	v_fmac_f32_e32 v28, v52, v29
	v_fma_f32 v29, v53, v29, -v54
	s_wait_alu 0xfffe
	s_cbranch_vccnz .LBB0_18
; %bb.17:
	v_mad_co_u64_u32 v[22:23], null, s6, v71, 0
	v_mad_co_u64_u32 v[52:53], null, s4, v70, 0
	;; [unrolled: 1-line block ×4, first 2 shown]
	s_delay_alu instid0(VALU_DEP_4) | instskip(SKIP_2) | instid1(VALU_DEP_4)
	v_mad_co_u64_u32 v[56:57], null, s7, v71, v[23:24]
	s_lshl_b64 s[0:1], s[10:11], 3
	v_mad_co_u64_u32 v[84:85], null, s4, v83, 0
	v_mad_co_u64_u32 v[64:65], null, s5, v70, v[53:54]
	;; [unrolled: 1-line block ×3, first 2 shown]
	s_delay_alu instid0(VALU_DEP_4) | instskip(SKIP_2) | instid1(VALU_DEP_4)
	v_dual_mov_b32 v23, v56 :: v_dual_mov_b32 v56, v63
	s_add_nc_u64 s[0:1], s[8:9], s[0:1]
	v_mad_co_u64_u32 v[67:68], null, s4, v81, 0
	v_mov_b32_e32 v53, v64
	s_delay_alu instid0(VALU_DEP_3) | instskip(SKIP_2) | instid1(VALU_DEP_4)
	v_mad_co_u64_u32 v[63:64], null, s5, v80, v[55:56]
	v_lshlrev_b64_e32 v[22:23], 3, v[22:23]
	v_mad_co_u64_u32 v[56:57], null, s5, v82, v[56:57]
	v_lshlrev_b64_e32 v[52:53], 3, v[52:53]
	v_and_or_b32 v69, 0x80, v79, v75
	s_and_b32 s16, s2, exec_lo
	s_delay_alu instid0(VALU_DEP_4) | instskip(SKIP_3) | instid1(VALU_DEP_3)
	v_add_co_u32 v22, vcc_lo, s0, v22
	v_mov_b32_e32 v55, v63
	s_wait_alu 0xfffd
	v_add_co_ci_u32_e32 v23, vcc_lo, s1, v23, vcc_lo
	v_add_co_u32 v52, vcc_lo, v22, v52
	s_delay_alu instid0(VALU_DEP_3) | instskip(SKIP_1) | instid1(VALU_DEP_3)
	v_lshlrev_b64_e32 v[54:55], 3, v[54:55]
	s_wait_alu 0xfffd
	v_add_co_ci_u32_e32 v53, vcc_lo, v23, v53, vcc_lo
	v_mov_b32_e32 v63, v56
	global_store_b64 v[52:53], v[46:47], off
	v_mov_b32_e32 v52, v66
	v_add_co_u32 v53, vcc_lo, v22, v54
	v_lshlrev_b64_e32 v[56:57], 3, v[62:63]
	s_wait_alu 0xfffd
	v_add_co_ci_u32_e32 v54, vcc_lo, v23, v55, vcc_lo
	s_delay_alu instid0(VALU_DEP_3)
	v_mad_co_u64_u32 v[62:63], null, s5, v74, v[52:53]
	v_dual_mov_b32 v52, v85 :: v_dual_mov_b32 v55, v68
	global_store_b64 v[53:54], v[58:59], off
	v_mov_b32_e32 v66, v62
	v_mad_co_u64_u32 v[63:64], null, s5, v81, v[55:56]
	v_add_co_u32 v55, vcc_lo, v22, v56
	s_delay_alu instid0(VALU_DEP_3) | instskip(SKIP_2) | instid1(VALU_DEP_4)
	v_lshlrev_b64_e32 v[53:54], 3, v[65:66]
	s_wait_alu 0xfffd
	v_add_co_ci_u32_e32 v56, vcc_lo, v23, v57, vcc_lo
	v_mov_b32_e32 v68, v63
	v_mad_co_u64_u32 v[62:63], null, s4, v69, 0
	global_store_b64 v[55:56], v[60:61], off
	v_mad_co_u64_u32 v[55:56], null, s5, v83, v[52:53]
	v_add_co_u32 v52, vcc_lo, v22, v53
	v_lshlrev_b64_e32 v[56:57], 3, v[67:68]
	v_add_nc_u32_e32 v68, 64, v69
	s_wait_alu 0xfffd
	v_add_co_ci_u32_e32 v53, vcc_lo, v23, v54, vcc_lo
	v_dual_mov_b32 v85, v55 :: v_dual_mov_b32 v54, v63
	s_delay_alu instid0(VALU_DEP_3)
	v_mad_co_u64_u32 v[64:65], null, s4, v68, 0
	global_store_b64 v[52:53], v[42:43], off
	v_add_co_u32 v52, vcc_lo, v22, v56
	v_lshlrev_b64_e32 v[55:56], 3, v[84:85]
	s_wait_alu 0xfffd
	v_add_co_ci_u32_e32 v53, vcc_lo, v23, v57, vcc_lo
	v_and_or_b32 v84, 0x80, v78, v76
	s_delay_alu instid0(VALU_DEP_3)
	v_mad_co_u64_u32 v[66:67], null, s5, v69, v[54:55]
	global_store_b64 v[52:53], v[44:45], off
	v_dual_mov_b32 v52, v65 :: v_dual_add_nc_u32 v85, 64, v84
                                        ; kill: def $vgpr53 killed $sgpr0 killed $exec
	v_add_co_u32 v54, vcc_lo, v22, v55
	s_wait_alu 0xfffd
	v_add_co_ci_u32_e32 v55, vcc_lo, v23, v56, vcc_lo
	s_delay_alu instid0(VALU_DEP_3)
	v_mad_co_u64_u32 v[52:53], null, s5, v68, v[52:53]
	v_dual_mov_b32 v63, v66 :: v_dual_add_nc_u32 v66, 0x80, v69
	global_store_b64 v[54:55], v[20:21], off
	v_lshlrev_b64_e32 v[53:54], 3, v[62:63]
	v_mov_b32_e32 v65, v52
	v_mad_co_u64_u32 v[55:56], null, s4, v66, 0
	v_mad_co_u64_u32 v[62:63], null, s4, v84, 0
	s_delay_alu instid0(VALU_DEP_4) | instskip(SKIP_2) | instid1(VALU_DEP_4)
	v_add_co_u32 v52, vcc_lo, v22, v53
	s_wait_alu 0xfffd
	v_add_co_ci_u32_e32 v53, vcc_lo, v23, v54, vcc_lo
	v_mov_b32_e32 v54, v56
	v_lshlrev_b64_e32 v[56:57], 3, v[64:65]
	global_store_b64 v[52:53], v[36:37], off
	v_mad_co_u64_u32 v[64:65], null, s5, v66, v[54:55]
	v_add_co_u32 v68, vcc_lo, v22, v56
	s_wait_alu 0xfffd
	v_add_co_ci_u32_e32 v69, vcc_lo, v23, v57, vcc_lo
	s_delay_alu instid0(VALU_DEP_3)
	v_mad_co_u64_u32 v[65:66], null, s5, v84, v[63:64]
	v_mad_co_u64_u32 v[66:67], null, s4, v85, 0
	v_mov_b32_e32 v56, v64
	global_store_b64 v[68:69], v[40:41], off
	v_mov_b32_e32 v63, v65
	v_lshlrev_b64_e32 v[53:54], 3, v[55:56]
	v_mov_b32_e32 v52, v67
	v_and_or_b32 v65, 0x80, v77, v73
	s_delay_alu instid0(VALU_DEP_2)
	v_mad_co_u64_u32 v[55:56], null, s5, v85, v[52:53]
	v_lshlrev_b64_e32 v[56:57], 3, v[62:63]
	v_add_co_u32 v52, vcc_lo, v22, v53
	s_wait_alu 0xfffd
	v_add_co_ci_u32_e32 v53, vcc_lo, v23, v54, vcc_lo
	v_add_nc_u32_e32 v62, 0x80, v84
	s_delay_alu instid0(VALU_DEP_4)
	v_add_co_u32 v56, vcc_lo, v22, v56
	s_wait_alu 0xfffd
	v_add_co_ci_u32_e32 v57, vcc_lo, v23, v57, vcc_lo
	v_mov_b32_e32 v67, v55
	v_mad_co_u64_u32 v[54:55], null, s4, v62, 0
	s_clause 0x1
	global_store_b64 v[52:53], v[38:39], off
	global_store_b64 v[56:57], v[34:35], off
	v_mad_co_u64_u32 v[56:57], null, s4, v65, 0
	v_lshlrev_b64_e32 v[52:53], 3, v[66:67]
	v_add_nc_u32_e32 v69, 0x80, v65
	s_delay_alu instid0(VALU_DEP_3) | instskip(NEXT) | instid1(VALU_DEP_4)
	v_mad_co_u64_u32 v[62:63], null, s5, v62, v[55:56]
	v_dual_mov_b32 v55, v57 :: v_dual_add_nc_u32 v68, 64, v65
	s_delay_alu instid0(VALU_DEP_4) | instskip(SKIP_2) | instid1(VALU_DEP_3)
	v_add_co_u32 v52, vcc_lo, v22, v52
	s_wait_alu 0xfffd
	v_add_co_ci_u32_e32 v53, vcc_lo, v23, v53, vcc_lo
	v_mad_co_u64_u32 v[65:66], null, s5, v65, v[55:56]
	v_mov_b32_e32 v55, v62
	v_mad_co_u64_u32 v[63:64], null, s4, v68, 0
	global_store_b64 v[52:53], v[32:33], off
	v_lshlrev_b64_e32 v[53:54], 3, v[54:55]
	v_dual_mov_b32 v57, v65 :: v_dual_mov_b32 v52, v64
	v_mad_co_u64_u32 v[66:67], null, s4, v69, 0
	s_delay_alu instid0(VALU_DEP_2) | instskip(NEXT) | instid1(VALU_DEP_3)
	v_lshlrev_b64_e32 v[56:57], 3, v[56:57]
	v_mad_co_u64_u32 v[64:65], null, s5, v68, v[52:53]
	v_add_co_u32 v52, vcc_lo, v22, v53
	s_delay_alu instid0(VALU_DEP_4) | instskip(SKIP_3) | instid1(VALU_DEP_3)
	v_mov_b32_e32 v55, v67
	s_wait_alu 0xfffd
	v_add_co_ci_u32_e32 v53, vcc_lo, v23, v54, vcc_lo
	v_add_co_u32 v54, vcc_lo, v22, v56
	v_mad_co_u64_u32 v[67:68], null, s5, v69, v[55:56]
	s_wait_alu 0xfffd
	v_add_co_ci_u32_e32 v55, vcc_lo, v23, v57, vcc_lo
	global_store_b64 v[52:53], v[24:25], off
	v_lshlrev_b64_e32 v[52:53], 3, v[63:64]
	global_store_b64 v[54:55], v[30:31], off
	v_lshlrev_b64_e32 v[54:55], 3, v[66:67]
	v_add_co_u32 v52, vcc_lo, v22, v52
	s_wait_alu 0xfffd
	v_add_co_ci_u32_e32 v53, vcc_lo, v23, v53, vcc_lo
	s_delay_alu instid0(VALU_DEP_3)
	v_add_co_u32 v54, vcc_lo, v22, v54
	s_wait_alu 0xfffd
	v_add_co_ci_u32_e32 v55, vcc_lo, v23, v55, vcc_lo
	s_clause 0x1
	global_store_b64 v[52:53], v[26:27], off
	global_store_b64 v[54:55], v[28:29], off
	s_cbranch_execz .LBB0_19
	s_branch .LBB0_22
.LBB0_18:
                                        ; implicit-def: $vgpr22_vgpr23
.LBB0_19:
	s_mov_b32 s0, exec_lo
                                        ; implicit-def: $vgpr22_vgpr23
	v_cmpx_gt_u64_e64 s[12:13], v[48:49]
	s_cbranch_execz .LBB0_21
; %bb.20:
	v_mad_co_u64_u32 v[22:23], null, s6, v71, 0
	v_mad_co_u64_u32 v[48:49], null, s4, v70, 0
	;; [unrolled: 1-line block ×3, first 2 shown]
	s_wait_alu 0xfffe
	s_and_not1_b32 s1, s16, exec_lo
	s_and_b32 s2, s2, exec_lo
	s_delay_alu instid0(VALU_DEP_3) | instskip(SKIP_1) | instid1(VALU_DEP_4)
	v_mad_co_u64_u32 v[54:55], null, s7, v71, v[23:24]
	v_mad_co_u64_u32 v[55:56], null, s4, v82, 0
	;; [unrolled: 1-line block ×3, first 2 shown]
	s_lshl_b64 s[6:7], s[10:11], 3
	v_mad_co_u64_u32 v[63:64], null, s4, v74, 0
	s_delay_alu instid0(VALU_DEP_3) | instskip(SKIP_3) | instid1(VALU_DEP_1)
	v_dual_mov_b32 v23, v54 :: v_dual_mov_b32 v54, v56
	s_wait_alu 0xfffe
	s_add_nc_u64 s[6:7], s[8:9], s[6:7]
	s_or_b32 s16, s1, s2
	v_lshlrev_b64_e32 v[22:23], 3, v[22:23]
	v_mad_co_u64_u32 v[56:57], null, s5, v80, v[53:54]
	v_mad_co_u64_u32 v[65:66], null, s5, v82, v[54:55]
	v_mov_b32_e32 v49, v62
	s_wait_alu 0xfffe
	s_delay_alu instid0(VALU_DEP_4) | instskip(SKIP_2) | instid1(VALU_DEP_4)
	v_add_co_u32 v22, vcc_lo, s6, v22
	s_wait_alu 0xfffd
	v_add_co_ci_u32_e32 v23, vcc_lo, s7, v23, vcc_lo
	v_dual_mov_b32 v53, v56 :: v_dual_mov_b32 v56, v65
	v_lshlrev_b64_e32 v[48:49], 3, v[48:49]
	v_mad_co_u64_u32 v[66:67], null, s4, v81, 0
	s_delay_alu instid0(VALU_DEP_2) | instskip(SKIP_1) | instid1(VALU_DEP_3)
	v_add_co_u32 v48, vcc_lo, v22, v48
	s_wait_alu 0xfffd
	v_add_co_ci_u32_e32 v49, vcc_lo, v23, v49, vcc_lo
	global_store_b64 v[48:49], v[46:47], off
	v_mov_b32_e32 v46, v64
	v_lshlrev_b64_e32 v[52:53], 3, v[52:53]
	s_delay_alu instid0(VALU_DEP_1) | instskip(SKIP_1) | instid1(VALU_DEP_2)
	v_add_co_u32 v47, vcc_lo, v22, v52
	s_wait_alu 0xfffd
	v_add_co_ci_u32_e32 v48, vcc_lo, v23, v53, vcc_lo
	v_lshlrev_b64_e32 v[52:53], 3, v[55:56]
	s_delay_alu instid0(VALU_DEP_3)
	v_mad_co_u64_u32 v[54:55], null, s5, v74, v[46:47]
	v_mov_b32_e32 v49, v67
	global_store_b64 v[47:48], v[58:59], off
	v_and_or_b32 v59, 0x80, v79, v75
	v_add_co_u32 v52, vcc_lo, v22, v52
	s_wait_alu 0xfffd
	v_add_co_ci_u32_e32 v53, vcc_lo, v23, v53, vcc_lo
	v_mov_b32_e32 v64, v54
	v_mad_co_u64_u32 v[55:56], null, s5, v81, v[49:50]
	v_mad_co_u64_u32 v[56:57], null, s4, v83, 0
	s_delay_alu instid0(VALU_DEP_3) | instskip(SKIP_2) | instid1(VALU_DEP_1)
	v_lshlrev_b64_e32 v[47:48], 3, v[63:64]
	global_store_b64 v[52:53], v[60:61], off
	v_dual_mov_b32 v67, v55 :: v_dual_mov_b32 v46, v57
	v_mad_co_u64_u32 v[52:53], null, s5, v83, v[46:47]
	v_add_co_u32 v46, vcc_lo, v22, v47
	v_mad_co_u64_u32 v[53:54], null, s4, v59, 0
	s_wait_alu 0xfffd
	v_add_co_ci_u32_e32 v47, vcc_lo, v23, v48, vcc_lo
	v_lshlrev_b64_e32 v[48:49], 3, v[66:67]
	v_dual_mov_b32 v57, v52 :: v_dual_add_nc_u32 v52, 64, v59
	global_store_b64 v[46:47], v[42:43], off
	v_mov_b32_e32 v46, v54
	v_add_co_u32 v42, vcc_lo, v22, v48
	v_lshlrev_b64_e32 v[47:48], 3, v[56:57]
	v_mad_co_u64_u32 v[55:56], null, s4, v52, 0
	s_wait_alu 0xfffd
	v_add_co_ci_u32_e32 v43, vcc_lo, v23, v49, vcc_lo
	s_delay_alu instid0(VALU_DEP_3)
	v_mad_co_u64_u32 v[57:58], null, s5, v59, v[46:47]
	v_add_co_u32 v46, vcc_lo, v22, v47
	s_wait_alu 0xfffd
	v_add_co_ci_u32_e32 v47, vcc_lo, v23, v48, vcc_lo
	global_store_b64 v[42:43], v[44:45], off
                                        ; kill: def $vgpr43 killed $sgpr0 killed $exec
	v_mov_b32_e32 v54, v57
	v_and_or_b32 v57, 0x80, v78, v76
	v_mov_b32_e32 v42, v56
	global_store_b64 v[46:47], v[20:21], off
	v_mad_co_u64_u32 v[46:47], null, s4, v57, 0
	v_mad_co_u64_u32 v[20:21], null, s5, v52, v[42:43]
	v_add_nc_u32_e32 v52, 0x80, v59
	v_lshlrev_b64_e32 v[42:43], 3, v[53:54]
	s_delay_alu instid0(VALU_DEP_2) | instskip(NEXT) | instid1(VALU_DEP_4)
	v_mad_co_u64_u32 v[44:45], null, s4, v52, 0
	v_mov_b32_e32 v56, v20
	s_delay_alu instid0(VALU_DEP_3) | instskip(SKIP_1) | instid1(VALU_DEP_4)
	v_add_co_u32 v20, vcc_lo, v22, v42
	s_wait_alu 0xfffd
	v_add_co_ci_u32_e32 v21, vcc_lo, v23, v43, vcc_lo
	s_delay_alu instid0(VALU_DEP_4)
	v_dual_mov_b32 v43, v47 :: v_dual_mov_b32 v42, v45
	v_lshlrev_b64_e32 v[48:49], 3, v[55:56]
	v_add_nc_u32_e32 v55, 64, v57
	global_store_b64 v[20:21], v[36:37], off
	v_mad_co_u64_u32 v[52:53], null, s5, v52, v[42:43]
	v_mad_co_u64_u32 v[42:43], null, s5, v57, v[43:44]
	v_add_co_u32 v47, vcc_lo, v22, v48
	s_wait_alu 0xfffd
	v_add_co_ci_u32_e32 v48, vcc_lo, v23, v49, vcc_lo
	v_mad_co_u64_u32 v[53:54], null, s4, v55, 0
	v_mov_b32_e32 v45, v52
	global_store_b64 v[47:48], v[40:41], off
	v_dual_mov_b32 v47, v42 :: v_dual_add_nc_u32 v42, 0x80, v57
	v_and_or_b32 v43, 0x80, v77, v73
	v_lshlrev_b64_e32 v[36:37], 3, v[44:45]
	v_mov_b32_e32 v20, v54
	s_delay_alu instid0(VALU_DEP_4) | instskip(NEXT) | instid1(VALU_DEP_4)
	v_lshlrev_b64_e32 v[40:41], 3, v[46:47]
	v_add_nc_u32_e32 v44, 64, v43
	v_add_nc_u32_e32 v45, 0x80, v43
	v_add_co_u32 v36, vcc_lo, v22, v36
	v_mad_co_u64_u32 v[20:21], null, s5, v55, v[20:21]
	s_wait_alu 0xfffd
	v_add_co_ci_u32_e32 v37, vcc_lo, v23, v37, vcc_lo
	v_add_co_u32 v40, vcc_lo, v22, v40
	s_wait_alu 0xfffd
	v_add_co_ci_u32_e32 v41, vcc_lo, v23, v41, vcc_lo
	s_delay_alu instid0(VALU_DEP_4)
	v_mov_b32_e32 v54, v20
	v_mad_co_u64_u32 v[20:21], null, s4, v42, 0
	s_clause 0x1
	global_store_b64 v[36:37], v[38:39], off
	global_store_b64 v[40:41], v[34:35], off
	v_mad_co_u64_u32 v[34:35], null, s4, v43, 0
	v_lshlrev_b64_e32 v[36:37], 3, v[53:54]
	v_mad_co_u64_u32 v[38:39], null, s5, v42, v[21:22]
	v_mad_co_u64_u32 v[39:40], null, s4, v44, 0
	s_delay_alu instid0(VALU_DEP_4) | instskip(NEXT) | instid1(VALU_DEP_4)
	v_mov_b32_e32 v21, v35
	v_add_co_u32 v36, vcc_lo, v22, v36
	s_wait_alu 0xfffd
	v_add_co_ci_u32_e32 v37, vcc_lo, v23, v37, vcc_lo
	s_delay_alu instid0(VALU_DEP_3)
	v_mad_co_u64_u32 v[41:42], null, s5, v43, v[21:22]
	v_mad_co_u64_u32 v[42:43], null, s4, v45, 0
	v_mov_b32_e32 v21, v38
	global_store_b64 v[36:37], v[32:33], off
	v_dual_mov_b32 v32, v40 :: v_dual_mov_b32 v35, v41
	v_lshlrev_b64_e32 v[20:21], 3, v[20:21]
	v_mov_b32_e32 v33, v43
	s_delay_alu instid0(VALU_DEP_3) | instskip(NEXT) | instid1(VALU_DEP_2)
	v_lshlrev_b64_e32 v[34:35], 3, v[34:35]
	v_mad_co_u64_u32 v[36:37], null, s5, v44, v[32:33]
	s_delay_alu instid0(VALU_DEP_4) | instskip(NEXT) | instid1(VALU_DEP_3)
	v_add_co_u32 v20, vcc_lo, v22, v20
	v_mad_co_u64_u32 v[32:33], null, s5, v45, v[33:34]
	s_wait_alu 0xfffd
	v_add_co_ci_u32_e32 v21, vcc_lo, v23, v21, vcc_lo
	s_delay_alu instid0(VALU_DEP_4)
	v_mov_b32_e32 v40, v36
	v_add_co_u32 v33, vcc_lo, v22, v34
	global_store_b64 v[20:21], v[24:25], off
	v_mov_b32_e32 v43, v32
	v_lshlrev_b64_e32 v[20:21], 3, v[39:40]
	s_wait_alu 0xfffd
	v_add_co_ci_u32_e32 v34, vcc_lo, v23, v35, vcc_lo
	s_delay_alu instid0(VALU_DEP_3) | instskip(NEXT) | instid1(VALU_DEP_3)
	v_lshlrev_b64_e32 v[24:25], 3, v[42:43]
	v_add_co_u32 v20, vcc_lo, v22, v20
	s_wait_alu 0xfffd
	v_add_co_ci_u32_e32 v21, vcc_lo, v23, v21, vcc_lo
	s_delay_alu instid0(VALU_DEP_3)
	v_add_co_u32 v24, vcc_lo, v22, v24
	s_wait_alu 0xfffd
	v_add_co_ci_u32_e32 v25, vcc_lo, v23, v25, vcc_lo
	s_clause 0x2
	global_store_b64 v[33:34], v[30:31], off
	global_store_b64 v[20:21], v[26:27], off
	;; [unrolled: 1-line block ×3, first 2 shown]
.LBB0_21:
	s_wait_alu 0xfffe
	s_or_b32 exec_lo, exec_lo, s0
.LBB0_22:
	s_wait_alu 0xfffe
	s_and_saveexec_b32 s0, s16
	s_cbranch_execnz .LBB0_24
; %bb.23:
	s_nop 0
	s_sendmsg sendmsg(MSG_DEALLOC_VGPRS)
	s_endpgm
.LBB0_24:
	v_dual_mul_f32 v20, v1, v5 :: v_dual_mul_f32 v21, v3, v7
	v_mul_f32_e32 v5, v0, v5
	s_delay_alu instid0(VALU_DEP_2) | instskip(NEXT) | instid1(VALU_DEP_3)
	v_dual_mul_f32 v7, v2, v7 :: v_dual_fmac_f32 v20, v0, v4
	v_dual_fmac_f32 v21, v2, v6 :: v_dual_mul_f32 v2, v15, v9
	s_delay_alu instid0(VALU_DEP_3) | instskip(NEXT) | instid1(VALU_DEP_3)
	v_fma_f32 v0, v1, v4, -v5
	v_fma_f32 v1, v3, v6, -v7
	s_delay_alu instid0(VALU_DEP_3) | instskip(NEXT) | instid1(VALU_DEP_2)
	v_dual_add_f32 v5, v50, v20 :: v_dual_add_f32 v4, v20, v21
	v_dual_add_f32 v7, v51, v0 :: v_dual_sub_f32 v6, v0, v1
	s_delay_alu instid0(VALU_DEP_2) | instskip(SKIP_2) | instid1(VALU_DEP_4)
	v_fmac_f32_e32 v50, -0.5, v4
	v_add_f32_e32 v0, v0, v1
	v_mul_f32_e32 v3, v14, v9
	v_add_f32_e32 v1, v7, v1
	s_delay_alu instid0(VALU_DEP_4) | instskip(NEXT) | instid1(VALU_DEP_4)
	v_dual_fmamk_f32 v9, v6, 0xbf5db3d7, v50 :: v_dual_sub_f32 v4, v20, v21
	v_fmac_f32_e32 v51, -0.5, v0
	v_dual_add_f32 v5, v5, v21 :: v_dual_fmac_f32 v50, 0x3f5db3d7, v6
	v_fma_f32 v6, v14, v8, -v2
	s_wait_loadcnt 0x2
	v_mul_f32_e32 v2, v17, v19
	v_fmamk_f32 v20, v4, 0x3f5db3d7, v51
	v_fmac_f32_e32 v3, v15, v8
	v_mul_f32_e32 v15, v16, v19
	v_fmac_f32_e32 v51, 0xbf5db3d7, v4
	v_fma_f32 v16, v16, v18, -v2
	s_wait_loadcnt 0x0
	v_dual_mul_f32 v19, v11, v13 :: v_dual_mul_f32 v0, v1, v3
	v_fmac_f32_e32 v15, v17, v18
	v_add_nc_u32_e32 v17, 0x7c, v70
	v_dual_mul_f32 v21, v10, v13 :: v_dual_add_nc_u32 v18, 0xbc, v70
	s_delay_alu instid0(VALU_DEP_4) | instskip(SKIP_4) | instid1(VALU_DEP_4)
	v_fmac_f32_e32 v0, v5, v6
	v_mul_f32_e32 v3, v5, v3
	v_mul_f32_e32 v2, v20, v15
	v_mad_co_u64_u32 v[4:5], null, s4, v72, 0
	v_mul_f32_e32 v15, v9, v15
	v_fma_f32 v1, v1, v6, -v3
	v_mad_co_u64_u32 v[6:7], null, s4, v17, 0
	v_fmac_f32_e32 v2, v9, v16
	v_mad_co_u64_u32 v[8:9], null, s4, v18, 0
	v_mov_b32_e32 v3, v5
	v_fmac_f32_e32 v21, v11, v12
	v_fma_f32 v12, v10, v12, -v19
	v_mov_b32_e32 v5, v7
	s_delay_alu instid0(VALU_DEP_4) | instskip(SKIP_1) | instid1(VALU_DEP_3)
	v_mad_co_u64_u32 v[13:14], null, s5, v72, v[3:4]
	v_mov_b32_e32 v3, v9
	v_mad_co_u64_u32 v[10:11], null, s5, v17, v[5:6]
	v_mul_f32_e32 v11, v51, v21
	v_mul_f32_e32 v9, v50, v21
	v_mov_b32_e32 v5, v13
	v_mad_co_u64_u32 v[13:14], null, s5, v18, v[3:4]
	v_mov_b32_e32 v7, v10
	v_fmac_f32_e32 v11, v50, v12
	s_delay_alu instid0(VALU_DEP_4)
	v_lshlrev_b64_e32 v[4:5], 3, v[4:5]
	v_fma_f32 v12, v51, v12, -v9
	v_fma_f32 v3, v20, v16, -v15
	v_lshlrev_b64_e32 v[6:7], 3, v[6:7]
	v_mov_b32_e32 v9, v13
	v_add_co_u32 v4, vcc_lo, v22, v4
	s_wait_alu 0xfffd
	v_add_co_ci_u32_e32 v5, vcc_lo, v23, v5, vcc_lo
	s_delay_alu instid0(VALU_DEP_3) | instskip(SKIP_3) | instid1(VALU_DEP_3)
	v_lshlrev_b64_e32 v[8:9], 3, v[8:9]
	v_add_co_u32 v6, vcc_lo, v22, v6
	s_wait_alu 0xfffd
	v_add_co_ci_u32_e32 v7, vcc_lo, v23, v7, vcc_lo
	v_add_co_u32 v8, vcc_lo, v22, v8
	s_wait_alu 0xfffd
	v_add_co_ci_u32_e32 v9, vcc_lo, v23, v9, vcc_lo
	s_clause 0x2
	global_store_b64 v[4:5], v[0:1], off
	global_store_b64 v[6:7], v[2:3], off
	;; [unrolled: 1-line block ×3, first 2 shown]
	s_nop 0
	s_sendmsg sendmsg(MSG_DEALLOC_VGPRS)
	s_endpgm
	.section	.rodata,"a",@progbits
	.p2align	6, 0x0
	.amdhsa_kernel fft_rtc_back_len192_factors_4_4_2_2_3_wgs_252_tpt_12_dim3_sp_ip_CI_sbcc_twdbase8_2step_dirReg
		.amdhsa_group_segment_fixed_size 0
		.amdhsa_private_segment_fixed_size 0
		.amdhsa_kernarg_size 88
		.amdhsa_user_sgpr_count 2
		.amdhsa_user_sgpr_dispatch_ptr 0
		.amdhsa_user_sgpr_queue_ptr 0
		.amdhsa_user_sgpr_kernarg_segment_ptr 1
		.amdhsa_user_sgpr_dispatch_id 0
		.amdhsa_user_sgpr_private_segment_size 0
		.amdhsa_wavefront_size32 1
		.amdhsa_uses_dynamic_stack 0
		.amdhsa_enable_private_segment 0
		.amdhsa_system_sgpr_workgroup_id_x 1
		.amdhsa_system_sgpr_workgroup_id_y 0
		.amdhsa_system_sgpr_workgroup_id_z 0
		.amdhsa_system_sgpr_workgroup_info 0
		.amdhsa_system_vgpr_workitem_id 0
		.amdhsa_next_free_vgpr 107
		.amdhsa_next_free_sgpr 25
		.amdhsa_reserve_vcc 1
		.amdhsa_float_round_mode_32 0
		.amdhsa_float_round_mode_16_64 0
		.amdhsa_float_denorm_mode_32 3
		.amdhsa_float_denorm_mode_16_64 3
		.amdhsa_fp16_overflow 0
		.amdhsa_workgroup_processor_mode 1
		.amdhsa_memory_ordered 1
		.amdhsa_forward_progress 0
		.amdhsa_round_robin_scheduling 0
		.amdhsa_exception_fp_ieee_invalid_op 0
		.amdhsa_exception_fp_denorm_src 0
		.amdhsa_exception_fp_ieee_div_zero 0
		.amdhsa_exception_fp_ieee_overflow 0
		.amdhsa_exception_fp_ieee_underflow 0
		.amdhsa_exception_fp_ieee_inexact 0
		.amdhsa_exception_int_div_zero 0
	.end_amdhsa_kernel
	.text
.Lfunc_end0:
	.size	fft_rtc_back_len192_factors_4_4_2_2_3_wgs_252_tpt_12_dim3_sp_ip_CI_sbcc_twdbase8_2step_dirReg, .Lfunc_end0-fft_rtc_back_len192_factors_4_4_2_2_3_wgs_252_tpt_12_dim3_sp_ip_CI_sbcc_twdbase8_2step_dirReg
                                        ; -- End function
	.section	.AMDGPU.csdata,"",@progbits
; Kernel info:
; codeLenInByte = 12720
; NumSgprs: 27
; NumVgprs: 107
; ScratchSize: 0
; MemoryBound: 0
; FloatMode: 240
; IeeeMode: 1
; LDSByteSize: 0 bytes/workgroup (compile time only)
; SGPRBlocks: 3
; VGPRBlocks: 13
; NumSGPRsForWavesPerEU: 27
; NumVGPRsForWavesPerEU: 107
; Occupancy: 12
; WaveLimiterHint : 1
; COMPUTE_PGM_RSRC2:SCRATCH_EN: 0
; COMPUTE_PGM_RSRC2:USER_SGPR: 2
; COMPUTE_PGM_RSRC2:TRAP_HANDLER: 0
; COMPUTE_PGM_RSRC2:TGID_X_EN: 1
; COMPUTE_PGM_RSRC2:TGID_Y_EN: 0
; COMPUTE_PGM_RSRC2:TGID_Z_EN: 0
; COMPUTE_PGM_RSRC2:TIDIG_COMP_CNT: 0
	.text
	.p2alignl 7, 3214868480
	.fill 96, 4, 3214868480
	.type	__hip_cuid_d7203a8fcc61fe5a,@object ; @__hip_cuid_d7203a8fcc61fe5a
	.section	.bss,"aw",@nobits
	.globl	__hip_cuid_d7203a8fcc61fe5a
__hip_cuid_d7203a8fcc61fe5a:
	.byte	0                               ; 0x0
	.size	__hip_cuid_d7203a8fcc61fe5a, 1

	.ident	"AMD clang version 19.0.0git (https://github.com/RadeonOpenCompute/llvm-project roc-6.4.0 25133 c7fe45cf4b819c5991fe208aaa96edf142730f1d)"
	.section	".note.GNU-stack","",@progbits
	.addrsig
	.addrsig_sym __hip_cuid_d7203a8fcc61fe5a
	.amdgpu_metadata
---
amdhsa.kernels:
  - .args:
      - .actual_access:  read_only
        .address_space:  global
        .offset:         0
        .size:           8
        .value_kind:     global_buffer
      - .address_space:  global
        .offset:         8
        .size:           8
        .value_kind:     global_buffer
      - .actual_access:  read_only
        .address_space:  global
        .offset:         16
        .size:           8
        .value_kind:     global_buffer
      - .actual_access:  read_only
        .address_space:  global
        .offset:         24
        .size:           8
        .value_kind:     global_buffer
      - .offset:         32
        .size:           8
        .value_kind:     by_value
      - .actual_access:  read_only
        .address_space:  global
        .offset:         40
        .size:           8
        .value_kind:     global_buffer
      - .actual_access:  read_only
        .address_space:  global
        .offset:         48
        .size:           8
        .value_kind:     global_buffer
      - .offset:         56
        .size:           4
        .value_kind:     by_value
      - .actual_access:  read_only
        .address_space:  global
        .offset:         64
        .size:           8
        .value_kind:     global_buffer
      - .actual_access:  read_only
        .address_space:  global
        .offset:         72
        .size:           8
        .value_kind:     global_buffer
      - .address_space:  global
        .offset:         80
        .size:           8
        .value_kind:     global_buffer
    .group_segment_fixed_size: 0
    .kernarg_segment_align: 8
    .kernarg_segment_size: 88
    .language:       OpenCL C
    .language_version:
      - 2
      - 0
    .max_flat_workgroup_size: 252
    .name:           fft_rtc_back_len192_factors_4_4_2_2_3_wgs_252_tpt_12_dim3_sp_ip_CI_sbcc_twdbase8_2step_dirReg
    .private_segment_fixed_size: 0
    .sgpr_count:     27
    .sgpr_spill_count: 0
    .symbol:         fft_rtc_back_len192_factors_4_4_2_2_3_wgs_252_tpt_12_dim3_sp_ip_CI_sbcc_twdbase8_2step_dirReg.kd
    .uniform_work_group_size: 1
    .uses_dynamic_stack: false
    .vgpr_count:     107
    .vgpr_spill_count: 0
    .wavefront_size: 32
    .workgroup_processor_mode: 1
amdhsa.target:   amdgcn-amd-amdhsa--gfx1201
amdhsa.version:
  - 1
  - 2
...

	.end_amdgpu_metadata
